;; amdgpu-corpus repo=zjin-lcf/HeCBench kind=compiled arch=gfx906 opt=O3
	.amdgcn_target "amdgcn-amd-amdhsa--gfx906"
	.amdhsa_code_object_version 6
	.text
	.protected	_Z23upsample_forward_kernelPKfPfmmmm ; -- Begin function _Z23upsample_forward_kernelPKfPfmmmm
	.globl	_Z23upsample_forward_kernelPKfPfmmmm
	.p2align	8
	.type	_Z23upsample_forward_kernelPKfPfmmmm,@function
_Z23upsample_forward_kernelPKfPfmmmm:   ; @_Z23upsample_forward_kernelPKfPfmmmm
; %bb.0:
	s_load_dword s0, s[4:5], 0x3c
	s_load_dwordx8 s[8:15], s[4:5], 0x10
	v_mov_b32_e32 v2, 0
	v_mov_b32_e32 v1, v2
	;; [unrolled: 1-line block ×3, first 2 shown]
	s_waitcnt lgkmcnt(0)
	s_and_b32 s0, s0, 0xffff
	v_mad_u64_u32 v[0:1], s[0:1], s0, v3, v[0:1]
	s_mul_i32 s0, s14, s13
	s_mul_hi_u32 s1, s14, s12
	s_add_i32 s17, s1, s0
	s_mul_i32 s0, s15, s12
	s_mul_i32 s16, s14, s12
	s_add_i32 s17, s17, s0
	s_mul_i32 s0, s16, s11
	s_mul_hi_u32 s1, s16, s10
	s_add_i32 s7, s1, s0
	s_mul_i32 s0, s17, s10
	s_mul_i32 s6, s16, s10
	s_add_i32 s7, s7, s0
	s_mul_i32 s1, s6, s9
	s_mul_hi_u32 s2, s6, s8
	s_mul_i32 s0, s7, s8
	s_add_i32 s1, s2, s1
	s_add_i32 s1, s1, s0
	s_mul_i32 s0, s6, s8
	v_cmp_gt_u64_e32 vcc, s[0:1], v[0:1]
	s_and_saveexec_b64 s[0:1], vcc
	s_cbranch_execz .LBB0_22
; %bb.1:
	v_or_b32_e32 v3, s7, v1
	v_cmp_ne_u64_e32 vcc, 0, v[2:3]
                                        ; implicit-def: $vgpr2_vgpr3
	s_and_saveexec_b64 s[0:1], vcc
	s_xor_b64 s[2:3], exec, s[0:1]
	s_cbranch_execz .LBB0_3
; %bb.2:
	v_cvt_f32_u32_e32 v2, s6
	v_cvt_f32_u32_e32 v3, s7
	s_sub_u32 s8, 0, s6
	s_subb_u32 s9, 0, s7
	v_madmk_f32 v2, v3, 0x4f800000, v2
	v_rcp_f32_e32 v2, v2
	v_mul_f32_e32 v2, 0x5f7ffffc, v2
	v_mul_f32_e32 v3, 0x2f800000, v2
	v_trunc_f32_e32 v3, v3
	v_madmk_f32 v2, v3, 0xcf800000, v2
	v_cvt_u32_f32_e32 v3, v3
	v_cvt_u32_f32_e32 v2, v2
	v_readfirstlane_b32 s18, v3
	v_readfirstlane_b32 s0, v2
	s_mul_i32 s1, s8, s18
	s_mul_hi_u32 s20, s8, s0
	s_mul_i32 s19, s9, s0
	s_add_i32 s1, s20, s1
	s_mul_i32 s21, s8, s0
	s_add_i32 s1, s1, s19
	s_mul_i32 s20, s0, s1
	s_mul_hi_u32 s22, s0, s21
	s_mul_hi_u32 s19, s0, s1
	s_add_u32 s20, s22, s20
	s_addc_u32 s19, 0, s19
	s_mul_hi_u32 s23, s18, s21
	s_mul_i32 s21, s18, s21
	s_add_u32 s20, s20, s21
	s_mul_hi_u32 s22, s18, s1
	s_addc_u32 s19, s19, s23
	s_addc_u32 s20, s22, 0
	s_mul_i32 s1, s18, s1
	s_add_u32 s1, s19, s1
	s_addc_u32 s19, 0, s20
	s_add_u32 s20, s0, s1
	s_cselect_b64 s[0:1], -1, 0
	s_cmp_lg_u64 s[0:1], 0
	s_addc_u32 s18, s18, s19
	s_mul_i32 s0, s8, s18
	s_mul_hi_u32 s1, s8, s20
	s_add_i32 s0, s1, s0
	s_mul_i32 s9, s9, s20
	s_add_i32 s0, s0, s9
	s_mul_i32 s8, s8, s20
	s_mul_hi_u32 s9, s18, s8
	s_mul_i32 s19, s18, s8
	s_mul_i32 s22, s20, s0
	s_mul_hi_u32 s8, s20, s8
	s_mul_hi_u32 s21, s20, s0
	s_add_u32 s8, s8, s22
	s_addc_u32 s21, 0, s21
	s_add_u32 s8, s8, s19
	s_mul_hi_u32 s1, s18, s0
	s_addc_u32 s8, s21, s9
	s_addc_u32 s1, s1, 0
	s_mul_i32 s0, s18, s0
	s_add_u32 s0, s8, s0
	s_addc_u32 s8, 0, s1
	s_add_u32 s9, s20, s0
	s_cselect_b64 s[0:1], -1, 0
	s_cmp_lg_u64 s[0:1], 0
	s_addc_u32 s8, s18, s8
	v_mad_u64_u32 v[2:3], s[0:1], v0, s8, 0
	v_mul_hi_u32 v4, v0, s9
	v_add_co_u32_e32 v6, vcc, v4, v2
	v_addc_co_u32_e32 v7, vcc, 0, v3, vcc
	v_mad_u64_u32 v[2:3], s[0:1], v1, s9, 0
	v_mad_u64_u32 v[4:5], s[0:1], v1, s8, 0
	v_add_co_u32_e32 v2, vcc, v6, v2
	v_addc_co_u32_e32 v2, vcc, v7, v3, vcc
	v_addc_co_u32_e32 v3, vcc, 0, v5, vcc
	v_add_co_u32_e32 v4, vcc, v2, v4
	v_addc_co_u32_e32 v5, vcc, 0, v3, vcc
	v_mul_lo_u32 v6, s7, v4
	v_mul_lo_u32 v7, s6, v5
	v_mad_u64_u32 v[2:3], s[0:1], s6, v4, 0
	v_add3_u32 v3, v3, v7, v6
	v_sub_u32_e32 v6, v1, v3
	v_mov_b32_e32 v7, s7
	v_sub_co_u32_e32 v2, vcc, v0, v2
	v_subb_co_u32_e64 v6, s[0:1], v6, v7, vcc
	v_subrev_co_u32_e64 v7, s[0:1], s6, v2
	v_subbrev_co_u32_e64 v6, s[0:1], 0, v6, s[0:1]
	v_cmp_le_u32_e64 s[0:1], s7, v6
	v_cndmask_b32_e64 v8, 0, -1, s[0:1]
	v_cmp_le_u32_e64 s[0:1], s6, v7
	v_cndmask_b32_e64 v7, 0, -1, s[0:1]
	v_cmp_eq_u32_e64 s[0:1], s7, v6
	v_cndmask_b32_e64 v6, v8, v7, s[0:1]
	v_add_co_u32_e64 v7, s[0:1], 2, v4
	v_addc_co_u32_e64 v8, s[0:1], 0, v5, s[0:1]
	v_add_co_u32_e64 v9, s[0:1], 1, v4
	v_addc_co_u32_e64 v10, s[0:1], 0, v5, s[0:1]
	v_subb_co_u32_e32 v3, vcc, v1, v3, vcc
	v_cmp_ne_u32_e64 s[0:1], 0, v6
	v_cmp_le_u32_e32 vcc, s7, v3
	v_cndmask_b32_e64 v6, v10, v8, s[0:1]
	v_cndmask_b32_e64 v8, 0, -1, vcc
	v_cmp_le_u32_e32 vcc, s6, v2
	v_cndmask_b32_e64 v2, 0, -1, vcc
	v_cmp_eq_u32_e32 vcc, s7, v3
	v_cndmask_b32_e32 v2, v8, v2, vcc
	v_cmp_ne_u32_e32 vcc, 0, v2
	v_cndmask_b32_e64 v2, v9, v7, s[0:1]
	v_cndmask_b32_e32 v3, v5, v6, vcc
	v_cndmask_b32_e32 v2, v4, v2, vcc
.LBB0_3:
	s_andn2_saveexec_b64 s[0:1], s[2:3]
	s_cbranch_execz .LBB0_5
; %bb.4:
	v_cvt_f32_u32_e32 v2, s6
	s_sub_i32 s2, 0, s6
	v_rcp_iflag_f32_e32 v2, v2
	v_mul_f32_e32 v2, 0x4f7ffffe, v2
	v_cvt_u32_f32_e32 v2, v2
	v_mul_lo_u32 v3, s2, v2
	v_mul_hi_u32 v3, v2, v3
	v_add_u32_e32 v2, v2, v3
	v_mul_hi_u32 v2, v0, v2
	v_mul_lo_u32 v3, v2, s6
	v_add_u32_e32 v4, 1, v2
	v_sub_u32_e32 v3, v0, v3
	v_subrev_u32_e32 v5, s6, v3
	v_cmp_le_u32_e32 vcc, s6, v3
	v_cndmask_b32_e32 v3, v3, v5, vcc
	v_cndmask_b32_e32 v2, v2, v4, vcc
	v_add_u32_e32 v4, 1, v2
	v_cmp_le_u32_e32 vcc, s6, v3
	v_cndmask_b32_e32 v2, v2, v4, vcc
	v_mov_b32_e32 v3, 0
.LBB0_5:
	s_or_b64 exec, exec, s[0:1]
	v_or_b32_e32 v5, s17, v1
	v_mov_b32_e32 v4, 0
	v_cmp_ne_u64_e32 vcc, 0, v[4:5]
                                        ; implicit-def: $vgpr6_vgpr7
	s_and_saveexec_b64 s[0:1], vcc
	s_xor_b64 s[2:3], exec, s[0:1]
	s_cbranch_execz .LBB0_7
; %bb.6:
	v_cvt_f32_u32_e32 v4, s16
	v_cvt_f32_u32_e32 v5, s17
	s_sub_u32 s6, 0, s16
	s_subb_u32 s7, 0, s17
	v_madmk_f32 v4, v5, 0x4f800000, v4
	v_rcp_f32_e32 v4, v4
	v_mul_f32_e32 v4, 0x5f7ffffc, v4
	v_mul_f32_e32 v5, 0x2f800000, v4
	v_trunc_f32_e32 v5, v5
	v_madmk_f32 v4, v5, 0xcf800000, v4
	v_cvt_u32_f32_e32 v5, v5
	v_cvt_u32_f32_e32 v4, v4
	v_readfirstlane_b32 s8, v5
	v_readfirstlane_b32 s0, v4
	s_mul_i32 s1, s6, s8
	s_mul_hi_u32 s18, s6, s0
	s_mul_i32 s9, s7, s0
	s_add_i32 s1, s18, s1
	s_mul_i32 s19, s6, s0
	s_add_i32 s1, s1, s9
	s_mul_i32 s18, s0, s1
	s_mul_hi_u32 s20, s0, s19
	s_mul_hi_u32 s9, s0, s1
	s_add_u32 s18, s20, s18
	s_addc_u32 s9, 0, s9
	s_mul_hi_u32 s21, s8, s19
	s_mul_i32 s19, s8, s19
	s_add_u32 s18, s18, s19
	s_mul_hi_u32 s20, s8, s1
	s_addc_u32 s9, s9, s21
	s_addc_u32 s18, s20, 0
	s_mul_i32 s1, s8, s1
	s_add_u32 s1, s9, s1
	s_addc_u32 s9, 0, s18
	s_add_u32 s18, s0, s1
	s_cselect_b64 s[0:1], -1, 0
	s_cmp_lg_u64 s[0:1], 0
	s_addc_u32 s8, s8, s9
	s_mul_i32 s0, s6, s8
	s_mul_hi_u32 s1, s6, s18
	s_add_i32 s0, s1, s0
	s_mul_i32 s7, s7, s18
	s_add_i32 s0, s0, s7
	s_mul_i32 s6, s6, s18
	s_mul_hi_u32 s7, s8, s6
	s_mul_i32 s9, s8, s6
	s_mul_i32 s20, s18, s0
	s_mul_hi_u32 s6, s18, s6
	s_mul_hi_u32 s19, s18, s0
	s_add_u32 s6, s6, s20
	s_addc_u32 s19, 0, s19
	s_add_u32 s6, s6, s9
	s_mul_hi_u32 s1, s8, s0
	s_addc_u32 s6, s19, s7
	s_addc_u32 s1, s1, 0
	s_mul_i32 s0, s8, s0
	s_add_u32 s0, s6, s0
	s_addc_u32 s6, 0, s1
	s_add_u32 s7, s18, s0
	s_cselect_b64 s[0:1], -1, 0
	s_cmp_lg_u64 s[0:1], 0
	s_addc_u32 s6, s8, s6
	v_mad_u64_u32 v[4:5], s[0:1], v0, s6, 0
	v_mul_hi_u32 v6, v0, s7
	v_add_co_u32_e32 v8, vcc, v6, v4
	v_addc_co_u32_e32 v9, vcc, 0, v5, vcc
	v_mad_u64_u32 v[4:5], s[0:1], v1, s7, 0
	v_mad_u64_u32 v[6:7], s[0:1], v1, s6, 0
	v_add_co_u32_e32 v4, vcc, v8, v4
	v_addc_co_u32_e32 v4, vcc, v9, v5, vcc
	v_addc_co_u32_e32 v5, vcc, 0, v7, vcc
	v_add_co_u32_e32 v6, vcc, v4, v6
	v_addc_co_u32_e32 v7, vcc, 0, v5, vcc
	v_mul_lo_u32 v8, s17, v6
	v_mul_lo_u32 v9, s16, v7
	v_mad_u64_u32 v[4:5], s[0:1], s16, v6, 0
	v_add3_u32 v5, v5, v9, v8
	v_sub_u32_e32 v8, v1, v5
	v_mov_b32_e32 v9, s17
	v_sub_co_u32_e32 v4, vcc, v0, v4
	v_subb_co_u32_e64 v8, s[0:1], v8, v9, vcc
	v_subrev_co_u32_e64 v9, s[0:1], s16, v4
	v_subbrev_co_u32_e64 v8, s[0:1], 0, v8, s[0:1]
	v_cmp_le_u32_e64 s[0:1], s17, v8
	v_cndmask_b32_e64 v10, 0, -1, s[0:1]
	v_cmp_le_u32_e64 s[0:1], s16, v9
	v_cndmask_b32_e64 v9, 0, -1, s[0:1]
	v_cmp_eq_u32_e64 s[0:1], s17, v8
	v_cndmask_b32_e64 v8, v10, v9, s[0:1]
	v_add_co_u32_e64 v9, s[0:1], 2, v6
	v_addc_co_u32_e64 v10, s[0:1], 0, v7, s[0:1]
	v_add_co_u32_e64 v11, s[0:1], 1, v6
	v_addc_co_u32_e64 v12, s[0:1], 0, v7, s[0:1]
	v_subb_co_u32_e32 v5, vcc, v1, v5, vcc
	v_cmp_ne_u32_e64 s[0:1], 0, v8
	v_cmp_le_u32_e32 vcc, s17, v5
	v_cndmask_b32_e64 v8, v12, v10, s[0:1]
	v_cndmask_b32_e64 v10, 0, -1, vcc
	v_cmp_le_u32_e32 vcc, s16, v4
	v_cndmask_b32_e64 v4, 0, -1, vcc
	v_cmp_eq_u32_e32 vcc, s17, v5
	v_cndmask_b32_e32 v4, v10, v4, vcc
	v_cmp_ne_u32_e32 vcc, 0, v4
	v_cndmask_b32_e64 v4, v11, v9, s[0:1]
	v_cndmask_b32_e32 v7, v7, v8, vcc
	v_cndmask_b32_e32 v6, v6, v4, vcc
.LBB0_7:
	s_andn2_saveexec_b64 s[0:1], s[2:3]
	s_cbranch_execz .LBB0_9
; %bb.8:
	v_cvt_f32_u32_e32 v4, s16
	s_sub_i32 s2, 0, s16
	v_rcp_iflag_f32_e32 v4, v4
	v_mul_f32_e32 v4, 0x4f7ffffe, v4
	v_cvt_u32_f32_e32 v4, v4
	v_mul_lo_u32 v5, s2, v4
	v_mul_hi_u32 v5, v4, v5
	v_add_u32_e32 v4, v4, v5
	v_mul_hi_u32 v4, v0, v4
	v_mul_lo_u32 v5, v4, s16
	v_add_u32_e32 v6, 1, v4
	v_sub_u32_e32 v5, v0, v5
	v_subrev_u32_e32 v7, s16, v5
	v_cmp_le_u32_e32 vcc, s16, v5
	v_cndmask_b32_e32 v5, v5, v7, vcc
	v_cndmask_b32_e32 v4, v4, v6, vcc
	v_add_u32_e32 v6, 1, v4
	v_cmp_le_u32_e32 vcc, s16, v5
	v_cndmask_b32_e32 v6, v4, v6, vcc
	v_mov_b32_e32 v7, 0
.LBB0_9:
	s_or_b64 exec, exec, s[0:1]
	v_or_b32_e32 v5, s11, v7
	v_mov_b32_e32 v4, 0
	v_cmp_ne_u64_e32 vcc, 0, v[4:5]
                                        ; implicit-def: $vgpr4_vgpr5
	s_and_saveexec_b64 s[0:1], vcc
	s_xor_b64 s[6:7], exec, s[0:1]
	s_cbranch_execz .LBB0_11
; %bb.10:
	v_cvt_f32_u32_e32 v4, s10
	v_cvt_f32_u32_e32 v5, s11
	s_sub_u32 s2, 0, s10
	s_subb_u32 s3, 0, s11
	v_madmk_f32 v4, v5, 0x4f800000, v4
	v_rcp_f32_e32 v4, v4
	v_mul_f32_e32 v4, 0x5f7ffffc, v4
	v_mul_f32_e32 v5, 0x2f800000, v4
	v_trunc_f32_e32 v5, v5
	v_madmk_f32 v4, v5, 0xcf800000, v4
	v_cvt_u32_f32_e32 v5, v5
	v_cvt_u32_f32_e32 v4, v4
	v_readfirstlane_b32 s8, v5
	v_readfirstlane_b32 s0, v4
	s_mul_i32 s1, s2, s8
	s_mul_hi_u32 s18, s2, s0
	s_mul_i32 s9, s3, s0
	s_add_i32 s1, s18, s1
	s_mul_i32 s19, s2, s0
	s_add_i32 s1, s1, s9
	s_mul_i32 s18, s0, s1
	s_mul_hi_u32 s20, s0, s19
	s_mul_hi_u32 s9, s0, s1
	s_add_u32 s18, s20, s18
	s_addc_u32 s9, 0, s9
	s_mul_hi_u32 s21, s8, s19
	s_mul_i32 s19, s8, s19
	s_add_u32 s18, s18, s19
	s_mul_hi_u32 s20, s8, s1
	s_addc_u32 s9, s9, s21
	s_addc_u32 s18, s20, 0
	s_mul_i32 s1, s8, s1
	s_add_u32 s1, s9, s1
	s_addc_u32 s9, 0, s18
	s_add_u32 s18, s0, s1
	s_cselect_b64 s[0:1], -1, 0
	s_cmp_lg_u64 s[0:1], 0
	s_addc_u32 s8, s8, s9
	s_mul_i32 s0, s2, s8
	s_mul_hi_u32 s1, s2, s18
	s_add_i32 s0, s1, s0
	s_mul_i32 s3, s3, s18
	s_add_i32 s0, s0, s3
	s_mul_i32 s2, s2, s18
	s_mul_hi_u32 s3, s8, s2
	s_mul_i32 s9, s8, s2
	s_mul_i32 s20, s18, s0
	s_mul_hi_u32 s2, s18, s2
	s_mul_hi_u32 s19, s18, s0
	s_add_u32 s2, s2, s20
	s_addc_u32 s19, 0, s19
	s_add_u32 s2, s2, s9
	s_mul_hi_u32 s1, s8, s0
	s_addc_u32 s2, s19, s3
	s_addc_u32 s1, s1, 0
	s_mul_i32 s0, s8, s0
	s_add_u32 s0, s2, s0
	s_addc_u32 s2, 0, s1
	s_add_u32 s3, s18, s0
	s_cselect_b64 s[0:1], -1, 0
	s_cmp_lg_u64 s[0:1], 0
	s_addc_u32 s2, s8, s2
	v_mad_u64_u32 v[4:5], s[0:1], v6, s2, 0
	v_mul_hi_u32 v8, v6, s3
	v_add_co_u32_e32 v10, vcc, v8, v4
	v_addc_co_u32_e32 v11, vcc, 0, v5, vcc
	v_mad_u64_u32 v[4:5], s[0:1], v7, s3, 0
	v_mad_u64_u32 v[8:9], s[0:1], v7, s2, 0
	v_add_co_u32_e32 v4, vcc, v10, v4
	v_addc_co_u32_e32 v4, vcc, v11, v5, vcc
	v_addc_co_u32_e32 v5, vcc, 0, v9, vcc
	v_add_co_u32_e32 v4, vcc, v4, v8
	v_addc_co_u32_e32 v5, vcc, 0, v5, vcc
	v_mul_lo_u32 v8, s11, v4
	v_mul_lo_u32 v9, s10, v5
	v_mad_u64_u32 v[4:5], s[0:1], s10, v4, 0
	v_add3_u32 v5, v5, v9, v8
	v_sub_u32_e32 v8, v7, v5
	v_mov_b32_e32 v9, s11
	v_sub_co_u32_e32 v4, vcc, v6, v4
	v_subb_co_u32_e64 v6, s[0:1], v8, v9, vcc
	v_subrev_co_u32_e64 v8, s[0:1], s10, v4
	v_subbrev_co_u32_e64 v10, s[2:3], 0, v6, s[0:1]
	v_cmp_le_u32_e64 s[2:3], s11, v10
	v_cndmask_b32_e64 v11, 0, -1, s[2:3]
	v_cmp_le_u32_e64 s[2:3], s10, v8
	v_subb_co_u32_e64 v6, s[0:1], v6, v9, s[0:1]
	v_cndmask_b32_e64 v12, 0, -1, s[2:3]
	v_cmp_eq_u32_e64 s[2:3], s11, v10
	v_subrev_co_u32_e64 v9, s[0:1], s10, v8
	v_subb_co_u32_e32 v5, vcc, v7, v5, vcc
	v_cndmask_b32_e64 v11, v11, v12, s[2:3]
	v_subbrev_co_u32_e64 v6, s[0:1], 0, v6, s[0:1]
	v_cmp_le_u32_e32 vcc, s11, v5
	v_cmp_ne_u32_e64 s[0:1], 0, v11
	v_cndmask_b32_e64 v7, 0, -1, vcc
	v_cmp_le_u32_e32 vcc, s10, v4
	v_cndmask_b32_e64 v6, v10, v6, s[0:1]
	v_cndmask_b32_e64 v10, 0, -1, vcc
	v_cmp_eq_u32_e32 vcc, s11, v5
	v_cndmask_b32_e32 v7, v7, v10, vcc
	v_cmp_ne_u32_e32 vcc, 0, v7
	v_cndmask_b32_e32 v5, v5, v6, vcc
	v_cndmask_b32_e64 v6, v8, v9, s[0:1]
	v_cndmask_b32_e32 v4, v4, v6, vcc
                                        ; implicit-def: $vgpr6_vgpr7
.LBB0_11:
	s_andn2_saveexec_b64 s[0:1], s[6:7]
	s_cbranch_execz .LBB0_13
; %bb.12:
	v_cvt_f32_u32_e32 v4, s10
	s_sub_i32 s2, 0, s10
	v_rcp_iflag_f32_e32 v4, v4
	v_mul_f32_e32 v4, 0x4f7ffffe, v4
	v_cvt_u32_f32_e32 v4, v4
	v_mul_lo_u32 v5, s2, v4
	v_mul_hi_u32 v5, v4, v5
	v_add_u32_e32 v4, v4, v5
	v_mul_hi_u32 v4, v6, v4
	v_mul_lo_u32 v4, v4, s10
	v_sub_u32_e32 v4, v6, v4
	v_subrev_u32_e32 v5, s10, v4
	v_cmp_le_u32_e32 vcc, s10, v4
	v_cndmask_b32_e32 v4, v4, v5, vcc
	v_subrev_u32_e32 v5, s10, v4
	v_cmp_le_u32_e32 vcc, s10, v4
	v_cndmask_b32_e32 v4, v4, v5, vcc
	v_mov_b32_e32 v5, 0
.LBB0_13:
	s_or_b64 exec, exec, s[0:1]
	v_or_b32_e32 v7, s15, v1
	v_mov_b32_e32 v6, 0
	v_cmp_ne_u64_e32 vcc, 0, v[6:7]
                                        ; implicit-def: $vgpr6_vgpr7
	s_and_saveexec_b64 s[0:1], vcc
	s_xor_b64 s[2:3], exec, s[0:1]
	s_cbranch_execz .LBB0_15
; %bb.14:
	v_cvt_f32_u32_e32 v6, s14
	v_cvt_f32_u32_e32 v7, s15
	s_sub_u32 s6, 0, s14
	s_subb_u32 s7, 0, s15
	v_madmk_f32 v6, v7, 0x4f800000, v6
	v_rcp_f32_e32 v6, v6
	v_mul_f32_e32 v6, 0x5f7ffffc, v6
	v_mul_f32_e32 v7, 0x2f800000, v6
	v_trunc_f32_e32 v7, v7
	v_madmk_f32 v6, v7, 0xcf800000, v6
	v_cvt_u32_f32_e32 v7, v7
	v_cvt_u32_f32_e32 v6, v6
	v_readfirstlane_b32 s8, v7
	v_readfirstlane_b32 s0, v6
	s_mul_i32 s1, s6, s8
	s_mul_hi_u32 s18, s6, s0
	s_mul_i32 s9, s7, s0
	s_add_i32 s1, s18, s1
	s_mul_i32 s19, s6, s0
	s_add_i32 s1, s1, s9
	s_mul_i32 s18, s0, s1
	s_mul_hi_u32 s20, s0, s19
	s_mul_hi_u32 s9, s0, s1
	s_add_u32 s18, s20, s18
	s_addc_u32 s9, 0, s9
	s_mul_hi_u32 s21, s8, s19
	s_mul_i32 s19, s8, s19
	s_add_u32 s18, s18, s19
	s_mul_hi_u32 s20, s8, s1
	s_addc_u32 s9, s9, s21
	s_addc_u32 s18, s20, 0
	s_mul_i32 s1, s8, s1
	s_add_u32 s1, s9, s1
	s_addc_u32 s9, 0, s18
	s_add_u32 s18, s0, s1
	s_cselect_b64 s[0:1], -1, 0
	s_cmp_lg_u64 s[0:1], 0
	s_addc_u32 s8, s8, s9
	s_mul_i32 s0, s6, s8
	s_mul_hi_u32 s1, s6, s18
	s_add_i32 s0, s1, s0
	s_mul_i32 s7, s7, s18
	s_add_i32 s0, s0, s7
	s_mul_i32 s6, s6, s18
	s_mul_hi_u32 s7, s8, s6
	s_mul_i32 s9, s8, s6
	s_mul_i32 s20, s18, s0
	s_mul_hi_u32 s6, s18, s6
	s_mul_hi_u32 s19, s18, s0
	s_add_u32 s6, s6, s20
	s_addc_u32 s19, 0, s19
	s_add_u32 s6, s6, s9
	s_mul_hi_u32 s1, s8, s0
	s_addc_u32 s6, s19, s7
	s_addc_u32 s1, s1, 0
	s_mul_i32 s0, s8, s0
	s_add_u32 s0, s6, s0
	s_addc_u32 s6, 0, s1
	s_add_u32 s7, s18, s0
	s_cselect_b64 s[0:1], -1, 0
	s_cmp_lg_u64 s[0:1], 0
	s_addc_u32 s6, s8, s6
	v_mad_u64_u32 v[6:7], s[0:1], v0, s6, 0
	v_mul_hi_u32 v8, v0, s7
	v_add_co_u32_e32 v10, vcc, v8, v6
	v_addc_co_u32_e32 v11, vcc, 0, v7, vcc
	v_mad_u64_u32 v[6:7], s[0:1], v1, s7, 0
	v_mad_u64_u32 v[8:9], s[0:1], v1, s6, 0
	v_add_co_u32_e32 v6, vcc, v10, v6
	v_addc_co_u32_e32 v6, vcc, v11, v7, vcc
	v_addc_co_u32_e32 v7, vcc, 0, v9, vcc
	v_add_co_u32_e32 v8, vcc, v6, v8
	v_addc_co_u32_e32 v9, vcc, 0, v7, vcc
	v_mul_lo_u32 v10, s15, v8
	v_mul_lo_u32 v11, s14, v9
	v_mad_u64_u32 v[6:7], s[0:1], s14, v8, 0
	v_add3_u32 v7, v7, v11, v10
	v_sub_u32_e32 v10, v1, v7
	v_mov_b32_e32 v11, s15
	v_sub_co_u32_e32 v6, vcc, v0, v6
	v_subb_co_u32_e64 v10, s[0:1], v10, v11, vcc
	v_subrev_co_u32_e64 v11, s[0:1], s14, v6
	v_subbrev_co_u32_e64 v10, s[0:1], 0, v10, s[0:1]
	v_cmp_le_u32_e64 s[0:1], s15, v10
	v_cndmask_b32_e64 v12, 0, -1, s[0:1]
	v_cmp_le_u32_e64 s[0:1], s14, v11
	v_cndmask_b32_e64 v11, 0, -1, s[0:1]
	v_cmp_eq_u32_e64 s[0:1], s15, v10
	v_cndmask_b32_e64 v10, v12, v11, s[0:1]
	v_add_co_u32_e64 v11, s[0:1], 2, v8
	v_addc_co_u32_e64 v12, s[0:1], 0, v9, s[0:1]
	v_add_co_u32_e64 v13, s[0:1], 1, v8
	v_addc_co_u32_e64 v14, s[0:1], 0, v9, s[0:1]
	v_subb_co_u32_e32 v7, vcc, v1, v7, vcc
	v_cmp_ne_u32_e64 s[0:1], 0, v10
	v_cmp_le_u32_e32 vcc, s15, v7
	v_cndmask_b32_e64 v10, v14, v12, s[0:1]
	v_cndmask_b32_e64 v12, 0, -1, vcc
	v_cmp_le_u32_e32 vcc, s14, v6
	v_cndmask_b32_e64 v6, 0, -1, vcc
	v_cmp_eq_u32_e32 vcc, s15, v7
	v_cndmask_b32_e32 v6, v12, v6, vcc
	v_cmp_ne_u32_e32 vcc, 0, v6
	v_cndmask_b32_e64 v6, v13, v11, s[0:1]
	v_cndmask_b32_e32 v7, v9, v10, vcc
	v_cndmask_b32_e32 v6, v8, v6, vcc
.LBB0_15:
	s_andn2_saveexec_b64 s[0:1], s[2:3]
	s_cbranch_execz .LBB0_17
; %bb.16:
	v_cvt_f32_u32_e32 v6, s14
	s_sub_i32 s2, 0, s14
	v_rcp_iflag_f32_e32 v6, v6
	v_mul_f32_e32 v6, 0x4f7ffffe, v6
	v_cvt_u32_f32_e32 v6, v6
	v_mul_lo_u32 v7, s2, v6
	v_mul_hi_u32 v7, v6, v7
	v_add_u32_e32 v6, v6, v7
	v_mul_hi_u32 v6, v0, v6
	v_mul_lo_u32 v7, v6, s14
	v_add_u32_e32 v8, 1, v6
	v_sub_u32_e32 v7, v0, v7
	v_subrev_u32_e32 v9, s14, v7
	v_cmp_le_u32_e32 vcc, s14, v7
	v_cndmask_b32_e32 v7, v7, v9, vcc
	v_cndmask_b32_e32 v6, v6, v8, vcc
	v_add_u32_e32 v8, 1, v6
	v_cmp_le_u32_e32 vcc, s14, v7
	v_cndmask_b32_e32 v6, v6, v8, vcc
	v_mov_b32_e32 v7, 0
.LBB0_17:
	s_or_b64 exec, exec, s[0:1]
	s_load_dwordx4 s[4:7], s[4:5], 0x0
	v_or_b32_e32 v9, s13, v7
	v_mov_b32_e32 v8, 0
	v_cmp_ne_u64_e32 vcc, 0, v[8:9]
                                        ; implicit-def: $vgpr8_vgpr9
	s_and_saveexec_b64 s[0:1], vcc
	s_xor_b64 s[8:9], exec, s[0:1]
	s_cbranch_execz .LBB0_19
; %bb.18:
	v_cvt_f32_u32_e32 v8, s12
	v_cvt_f32_u32_e32 v9, s13
	s_sub_u32 s2, 0, s12
	s_subb_u32 s3, 0, s13
	v_madmk_f32 v8, v9, 0x4f800000, v8
	v_rcp_f32_e32 v8, v8
	v_mul_f32_e32 v8, 0x5f7ffffc, v8
	v_mul_f32_e32 v9, 0x2f800000, v8
	v_trunc_f32_e32 v9, v9
	v_madmk_f32 v8, v9, 0xcf800000, v8
	v_cvt_u32_f32_e32 v9, v9
	v_cvt_u32_f32_e32 v8, v8
	v_readfirstlane_b32 s18, v9
	v_readfirstlane_b32 s0, v8
	s_mul_i32 s1, s2, s18
	s_mul_hi_u32 s20, s2, s0
	s_mul_i32 s19, s3, s0
	s_add_i32 s1, s20, s1
	s_mul_i32 s21, s2, s0
	s_add_i32 s1, s1, s19
	s_mul_i32 s20, s0, s1
	s_mul_hi_u32 s22, s0, s21
	s_mul_hi_u32 s19, s0, s1
	s_add_u32 s20, s22, s20
	s_addc_u32 s19, 0, s19
	s_mul_hi_u32 s23, s18, s21
	s_mul_i32 s21, s18, s21
	s_add_u32 s20, s20, s21
	s_mul_hi_u32 s22, s18, s1
	s_addc_u32 s19, s19, s23
	s_addc_u32 s20, s22, 0
	s_mul_i32 s1, s18, s1
	s_add_u32 s1, s19, s1
	s_addc_u32 s19, 0, s20
	s_add_u32 s20, s0, s1
	s_cselect_b64 s[0:1], -1, 0
	s_cmp_lg_u64 s[0:1], 0
	s_addc_u32 s18, s18, s19
	s_mul_i32 s0, s2, s18
	s_mul_hi_u32 s1, s2, s20
	s_add_i32 s0, s1, s0
	s_mul_i32 s3, s3, s20
	s_add_i32 s0, s0, s3
	s_mul_i32 s2, s2, s20
	s_mul_hi_u32 s3, s18, s2
	s_mul_i32 s19, s18, s2
	s_mul_i32 s22, s20, s0
	s_mul_hi_u32 s2, s20, s2
	s_mul_hi_u32 s21, s20, s0
	s_add_u32 s2, s2, s22
	s_addc_u32 s21, 0, s21
	s_add_u32 s2, s2, s19
	s_mul_hi_u32 s1, s18, s0
	s_addc_u32 s2, s21, s3
	s_addc_u32 s1, s1, 0
	s_mul_i32 s0, s18, s0
	s_add_u32 s0, s2, s0
	s_addc_u32 s2, 0, s1
	s_add_u32 s3, s20, s0
	s_cselect_b64 s[0:1], -1, 0
	s_cmp_lg_u64 s[0:1], 0
	s_addc_u32 s2, s18, s2
	v_mad_u64_u32 v[8:9], s[0:1], v6, s2, 0
	v_mul_hi_u32 v10, v6, s3
	v_add_co_u32_e32 v12, vcc, v10, v8
	v_addc_co_u32_e32 v13, vcc, 0, v9, vcc
	v_mad_u64_u32 v[8:9], s[0:1], v7, s3, 0
	v_mad_u64_u32 v[10:11], s[0:1], v7, s2, 0
	v_add_co_u32_e32 v8, vcc, v12, v8
	v_addc_co_u32_e32 v8, vcc, v13, v9, vcc
	v_addc_co_u32_e32 v9, vcc, 0, v11, vcc
	v_add_co_u32_e32 v8, vcc, v8, v10
	v_addc_co_u32_e32 v9, vcc, 0, v9, vcc
	v_mul_lo_u32 v10, s13, v8
	v_mul_lo_u32 v11, s12, v9
	v_mad_u64_u32 v[8:9], s[0:1], s12, v8, 0
	v_add3_u32 v9, v9, v11, v10
	v_sub_u32_e32 v10, v7, v9
	v_mov_b32_e32 v11, s13
	v_sub_co_u32_e32 v8, vcc, v6, v8
	v_subb_co_u32_e64 v10, s[0:1], v10, v11, vcc
	v_subrev_co_u32_e64 v12, s[0:1], s12, v8
	v_subbrev_co_u32_e64 v13, s[2:3], 0, v10, s[0:1]
	v_cmp_le_u32_e64 s[2:3], s13, v13
	v_cndmask_b32_e64 v14, 0, -1, s[2:3]
	v_cmp_le_u32_e64 s[2:3], s12, v12
	v_subb_co_u32_e64 v10, s[0:1], v10, v11, s[0:1]
	v_cndmask_b32_e64 v15, 0, -1, s[2:3]
	v_cmp_eq_u32_e64 s[2:3], s13, v13
	v_subrev_co_u32_e64 v11, s[0:1], s12, v12
	v_cndmask_b32_e64 v14, v14, v15, s[2:3]
	v_subbrev_co_u32_e64 v10, s[0:1], 0, v10, s[0:1]
	v_subb_co_u32_e32 v9, vcc, v7, v9, vcc
	v_cmp_ne_u32_e64 s[0:1], 0, v14
	v_cmp_le_u32_e32 vcc, s13, v9
	v_cndmask_b32_e64 v10, v13, v10, s[0:1]
	v_cndmask_b32_e64 v13, 0, -1, vcc
	v_cmp_le_u32_e32 vcc, s12, v8
	v_cndmask_b32_e64 v14, 0, -1, vcc
	v_cmp_eq_u32_e32 vcc, s13, v9
	v_cndmask_b32_e32 v13, v13, v14, vcc
	v_cmp_ne_u32_e32 vcc, 0, v13
	v_cndmask_b32_e32 v9, v9, v10, vcc
	v_cndmask_b32_e64 v10, v12, v11, s[0:1]
	v_cndmask_b32_e32 v8, v8, v10, vcc
.LBB0_19:
	s_andn2_saveexec_b64 s[0:1], s[8:9]
	s_cbranch_execz .LBB0_21
; %bb.20:
	v_cvt_f32_u32_e32 v8, s12
	s_sub_i32 s2, 0, s12
	v_rcp_iflag_f32_e32 v8, v8
	v_mul_f32_e32 v8, 0x4f7ffffe, v8
	v_cvt_u32_f32_e32 v8, v8
	v_mul_lo_u32 v9, s2, v8
	v_mul_hi_u32 v9, v8, v9
	v_add_u32_e32 v8, v8, v9
	v_mul_hi_u32 v8, v6, v8
	v_mul_lo_u32 v8, v8, s12
	v_sub_u32_e32 v8, v6, v8
	v_subrev_u32_e32 v9, s12, v8
	v_cmp_le_u32_e32 vcc, s12, v8
	v_cndmask_b32_e32 v8, v8, v9, vcc
	v_subrev_u32_e32 v9, s12, v8
	v_cmp_le_u32_e32 vcc, s12, v8
	v_cndmask_b32_e32 v8, v8, v9, vcc
	v_mov_b32_e32 v9, 0
.LBB0_21:
	s_or_b64 exec, exec, s[0:1]
	v_mad_u64_u32 v[4:5], s[0:1], v2, s10, v[4:5]
	v_mul_lo_u32 v2, v2, s11
	v_mul_lo_u32 v3, v3, s10
	;; [unrolled: 1-line block ×4, first 2 shown]
	v_mad_u64_u32 v[6:7], s[0:1], v6, s14, 0
	v_add3_u32 v5, v3, v5, v2
	v_mul_lo_u32 v12, v5, s16
	v_add3_u32 v10, v7, v11, v10
	v_mul_lo_u32 v11, v4, s17
	v_mad_u64_u32 v[2:3], s[0:1], v4, s16, 0
	v_mul_lo_u32 v9, v9, s14
	v_mul_lo_u32 v13, v8, s15
	v_mad_u64_u32 v[7:8], s[0:1], v8, s14, 0
	v_add3_u32 v3, v3, v11, v12
	v_sub_co_u32_e32 v0, vcc, v0, v6
	v_lshlrev_b64 v[2:3], 2, v[2:3]
	v_subb_co_u32_e32 v1, vcc, v1, v10, vcc
	v_add3_u32 v8, v8, v13, v9
	s_waitcnt lgkmcnt(0)
	v_mov_b32_e32 v6, s5
	v_add_co_u32_e32 v9, vcc, s4, v2
	v_addc_co_u32_e32 v6, vcc, v6, v3, vcc
	v_lshlrev_b64 v[2:3], 2, v[7:8]
	s_mul_i32 s2, s14, s13
	v_add_co_u32_e32 v9, vcc, v9, v2
	v_addc_co_u32_e32 v6, vcc, v6, v3, vcc
	v_lshlrev_b64 v[2:3], 2, v[0:1]
	s_mul_hi_u32 s3, s14, s12
	v_add_co_u32_e32 v2, vcc, v9, v2
	v_addc_co_u32_e32 v3, vcc, v6, v3, vcc
	global_load_dword v2, v[2:3], off
	s_mul_i32 s4, s15, s12
	s_add_i32 s2, s3, s2
	s_mul_i32 s5, s14, s12
	s_add_i32 s2, s2, s4
	v_mul_lo_u32 v10, s2, v4
	v_mad_u64_u32 v[3:4], s[2:3], s5, v4, 0
	v_mul_lo_u32 v11, s5, v5
	v_mov_b32_e32 v9, s7
	v_lshlrev_b64 v[5:6], 4, v[7:8]
	v_lshlrev_b64 v[0:1], 3, v[0:1]
	v_add3_u32 v4, v4, v11, v10
	v_lshlrev_b64 v[3:4], 4, v[3:4]
	s_lshl_b64 s[0:1], s[14:15], 3
	v_add_co_u32_e32 v3, vcc, s6, v3
	v_addc_co_u32_e32 v4, vcc, v9, v4, vcc
	v_add_co_u32_e32 v3, vcc, v3, v5
	v_addc_co_u32_e32 v4, vcc, v4, v6, vcc
	;; [unrolled: 2-line block ×3, first 2 shown]
	v_mov_b32_e32 v12, s1
	v_add_co_u32_e32 v4, vcc, s0, v0
	v_addc_co_u32_e32 v5, vcc, v1, v12, vcc
	s_waitcnt vmcnt(0)
	v_mov_b32_e32 v3, v2
	global_store_dwordx2 v[0:1], v[2:3], off
	global_store_dwordx2 v[4:5], v[2:3], off
.LBB0_22:
	s_endpgm
	.section	.rodata,"a",@progbits
	.p2align	6, 0x0
	.amdhsa_kernel _Z23upsample_forward_kernelPKfPfmmmm
		.amdhsa_group_segment_fixed_size 0
		.amdhsa_private_segment_fixed_size 0
		.amdhsa_kernarg_size 304
		.amdhsa_user_sgpr_count 6
		.amdhsa_user_sgpr_private_segment_buffer 1
		.amdhsa_user_sgpr_dispatch_ptr 0
		.amdhsa_user_sgpr_queue_ptr 0
		.amdhsa_user_sgpr_kernarg_segment_ptr 1
		.amdhsa_user_sgpr_dispatch_id 0
		.amdhsa_user_sgpr_flat_scratch_init 0
		.amdhsa_user_sgpr_private_segment_size 0
		.amdhsa_uses_dynamic_stack 0
		.amdhsa_system_sgpr_private_segment_wavefront_offset 0
		.amdhsa_system_sgpr_workgroup_id_x 1
		.amdhsa_system_sgpr_workgroup_id_y 0
		.amdhsa_system_sgpr_workgroup_id_z 0
		.amdhsa_system_sgpr_workgroup_info 0
		.amdhsa_system_vgpr_workitem_id 0
		.amdhsa_next_free_vgpr 16
		.amdhsa_next_free_sgpr 24
		.amdhsa_reserve_vcc 1
		.amdhsa_reserve_flat_scratch 0
		.amdhsa_float_round_mode_32 0
		.amdhsa_float_round_mode_16_64 0
		.amdhsa_float_denorm_mode_32 3
		.amdhsa_float_denorm_mode_16_64 3
		.amdhsa_dx10_clamp 1
		.amdhsa_ieee_mode 1
		.amdhsa_fp16_overflow 0
		.amdhsa_exception_fp_ieee_invalid_op 0
		.amdhsa_exception_fp_denorm_src 0
		.amdhsa_exception_fp_ieee_div_zero 0
		.amdhsa_exception_fp_ieee_overflow 0
		.amdhsa_exception_fp_ieee_underflow 0
		.amdhsa_exception_fp_ieee_inexact 0
		.amdhsa_exception_int_div_zero 0
	.end_amdhsa_kernel
	.text
.Lfunc_end0:
	.size	_Z23upsample_forward_kernelPKfPfmmmm, .Lfunc_end0-_Z23upsample_forward_kernelPKfPfmmmm
                                        ; -- End function
	.set _Z23upsample_forward_kernelPKfPfmmmm.num_vgpr, 16
	.set _Z23upsample_forward_kernelPKfPfmmmm.num_agpr, 0
	.set _Z23upsample_forward_kernelPKfPfmmmm.numbered_sgpr, 24
	.set _Z23upsample_forward_kernelPKfPfmmmm.num_named_barrier, 0
	.set _Z23upsample_forward_kernelPKfPfmmmm.private_seg_size, 0
	.set _Z23upsample_forward_kernelPKfPfmmmm.uses_vcc, 1
	.set _Z23upsample_forward_kernelPKfPfmmmm.uses_flat_scratch, 0
	.set _Z23upsample_forward_kernelPKfPfmmmm.has_dyn_sized_stack, 0
	.set _Z23upsample_forward_kernelPKfPfmmmm.has_recursion, 0
	.set _Z23upsample_forward_kernelPKfPfmmmm.has_indirect_call, 0
	.section	.AMDGPU.csdata,"",@progbits
; Kernel info:
; codeLenInByte = 3896
; TotalNumSgprs: 28
; NumVgprs: 16
; ScratchSize: 0
; MemoryBound: 0
; FloatMode: 240
; IeeeMode: 1
; LDSByteSize: 0 bytes/workgroup (compile time only)
; SGPRBlocks: 3
; VGPRBlocks: 3
; NumSGPRsForWavesPerEU: 28
; NumVGPRsForWavesPerEU: 16
; Occupancy: 10
; WaveLimiterHint : 0
; COMPUTE_PGM_RSRC2:SCRATCH_EN: 0
; COMPUTE_PGM_RSRC2:USER_SGPR: 6
; COMPUTE_PGM_RSRC2:TRAP_HANDLER: 0
; COMPUTE_PGM_RSRC2:TGID_X_EN: 1
; COMPUTE_PGM_RSRC2:TGID_Y_EN: 0
; COMPUTE_PGM_RSRC2:TGID_Z_EN: 0
; COMPUTE_PGM_RSRC2:TIDIG_COMP_CNT: 0
	.text
	.protected	_Z24upsample_forward_kernel2PKfPfmmmm ; -- Begin function _Z24upsample_forward_kernel2PKfPfmmmm
	.globl	_Z24upsample_forward_kernel2PKfPfmmmm
	.p2align	8
	.type	_Z24upsample_forward_kernel2PKfPfmmmm,@function
_Z24upsample_forward_kernel2PKfPfmmmm:  ; @_Z24upsample_forward_kernel2PKfPfmmmm
; %bb.0:
	s_load_dword s0, s[4:5], 0x3c
	s_load_dwordx4 s[12:15], s[4:5], 0x20
	s_waitcnt lgkmcnt(0)
	s_lshr_b32 s1, s0, 16
	s_and_b32 s0, s0, 0xffff
	s_mul_i32 s7, s7, s1
	s_mul_i32 s6, s6, s0
	v_add_u32_e32 v2, s7, v1
	v_mov_b32_e32 v1, 0
	v_add_u32_e32 v0, s6, v0
	v_mov_b32_e32 v3, v1
	v_cmp_gt_u64_e32 vcc, s[14:15], v[0:1]
	v_cmp_gt_u64_e64 s[0:1], s[12:13], v[2:3]
	s_and_b64 s[0:1], vcc, s[0:1]
	s_and_saveexec_b64 s[2:3], s[0:1]
	s_cbranch_execz .LBB1_2
; %bb.1:
	s_mul_i32 s0, s13, s8
	s_mul_hi_u32 s1, s12, s8
	s_add_i32 s9, s1, s0
	s_mul_i32 s6, s12, s8
	v_mov_b32_e32 v3, s9
	v_add_co_u32_e32 v4, vcc, s6, v2
	v_addc_co_u32_e32 v3, vcc, 0, v3, vcc
	v_mul_lo_u32 v5, v3, s14
	v_mul_lo_u32 v6, v4, s15
	v_mad_u64_u32 v[3:4], s[0:1], v4, s14, 0
	s_load_dwordx4 s[0:3], s[4:5], 0x0
	s_lshl_b32 s5, s14, 1
	v_add3_u32 v4, v4, v6, v5
	v_lshlrev_b64 v[3:4], 2, v[3:4]
	s_mul_hi_u32 s8, s6, s5
	s_waitcnt lgkmcnt(0)
	v_mov_b32_e32 v5, s1
	v_add_co_u32_e32 v6, vcc, s0, v3
	v_addc_co_u32_e32 v5, vcc, v5, v4, vcc
	v_lshlrev_b64 v[3:4], 2, v[0:1]
	s_lshr_b64 s[0:1], s[14:15], 31
	v_add_co_u32_e32 v3, vcc, v6, v3
	v_addc_co_u32_e32 v4, vcc, v5, v4, vcc
	global_load_dword v3, v[3:4], off
	v_lshlrev_b32_e32 v6, 1, v2
	s_mul_i32 s1, s6, s0
	s_mul_i32 s4, s6, s5
	v_mad_u64_u32 v[4:5], s[6:7], s5, v6, 0
	s_add_i32 s1, s8, s1
	s_mul_i32 s9, s9, s5
	v_mov_b32_e32 v2, v5
	s_add_i32 s5, s1, s9
	s_lshl_b64 s[4:5], s[4:5], 3
	s_add_u32 s2, s2, s4
	v_lshlrev_b32_e32 v0, 1, v0
	s_addc_u32 s3, s3, s5
	v_lshlrev_b64 v[0:1], 2, v[0:1]
	s_waitcnt vmcnt(0)
	v_mad_u64_u32 v[5:6], s[0:1], s0, v6, v[2:3]
	v_mov_b32_e32 v2, s3
	s_lshl_b64 s[0:1], s[14:15], 3
	v_lshlrev_b64 v[4:5], 2, v[4:5]
	v_mov_b32_e32 v6, s1
	v_add_co_u32_e32 v4, vcc, s2, v4
	v_addc_co_u32_e32 v2, vcc, v2, v5, vcc
	v_add_co_u32_e32 v0, vcc, v4, v0
	v_addc_co_u32_e32 v1, vcc, v2, v1, vcc
	v_add_co_u32_e32 v5, vcc, s0, v0
	v_mov_b32_e32 v4, v3
	v_addc_co_u32_e32 v6, vcc, v1, v6, vcc
	global_store_dwordx2 v[0:1], v[3:4], off
	global_store_dwordx2 v[5:6], v[3:4], off
.LBB1_2:
	s_endpgm
	.section	.rodata,"a",@progbits
	.p2align	6, 0x0
	.amdhsa_kernel _Z24upsample_forward_kernel2PKfPfmmmm
		.amdhsa_group_segment_fixed_size 0
		.amdhsa_private_segment_fixed_size 0
		.amdhsa_kernarg_size 304
		.amdhsa_user_sgpr_count 6
		.amdhsa_user_sgpr_private_segment_buffer 1
		.amdhsa_user_sgpr_dispatch_ptr 0
		.amdhsa_user_sgpr_queue_ptr 0
		.amdhsa_user_sgpr_kernarg_segment_ptr 1
		.amdhsa_user_sgpr_dispatch_id 0
		.amdhsa_user_sgpr_flat_scratch_init 0
		.amdhsa_user_sgpr_private_segment_size 0
		.amdhsa_uses_dynamic_stack 0
		.amdhsa_system_sgpr_private_segment_wavefront_offset 0
		.amdhsa_system_sgpr_workgroup_id_x 1
		.amdhsa_system_sgpr_workgroup_id_y 1
		.amdhsa_system_sgpr_workgroup_id_z 1
		.amdhsa_system_sgpr_workgroup_info 0
		.amdhsa_system_vgpr_workitem_id 1
		.amdhsa_next_free_vgpr 7
		.amdhsa_next_free_sgpr 16
		.amdhsa_reserve_vcc 1
		.amdhsa_reserve_flat_scratch 0
		.amdhsa_float_round_mode_32 0
		.amdhsa_float_round_mode_16_64 0
		.amdhsa_float_denorm_mode_32 3
		.amdhsa_float_denorm_mode_16_64 3
		.amdhsa_dx10_clamp 1
		.amdhsa_ieee_mode 1
		.amdhsa_fp16_overflow 0
		.amdhsa_exception_fp_ieee_invalid_op 0
		.amdhsa_exception_fp_denorm_src 0
		.amdhsa_exception_fp_ieee_div_zero 0
		.amdhsa_exception_fp_ieee_overflow 0
		.amdhsa_exception_fp_ieee_underflow 0
		.amdhsa_exception_fp_ieee_inexact 0
		.amdhsa_exception_int_div_zero 0
	.end_amdhsa_kernel
	.text
.Lfunc_end1:
	.size	_Z24upsample_forward_kernel2PKfPfmmmm, .Lfunc_end1-_Z24upsample_forward_kernel2PKfPfmmmm
                                        ; -- End function
	.set _Z24upsample_forward_kernel2PKfPfmmmm.num_vgpr, 7
	.set _Z24upsample_forward_kernel2PKfPfmmmm.num_agpr, 0
	.set _Z24upsample_forward_kernel2PKfPfmmmm.numbered_sgpr, 16
	.set _Z24upsample_forward_kernel2PKfPfmmmm.num_named_barrier, 0
	.set _Z24upsample_forward_kernel2PKfPfmmmm.private_seg_size, 0
	.set _Z24upsample_forward_kernel2PKfPfmmmm.uses_vcc, 1
	.set _Z24upsample_forward_kernel2PKfPfmmmm.uses_flat_scratch, 0
	.set _Z24upsample_forward_kernel2PKfPfmmmm.has_dyn_sized_stack, 0
	.set _Z24upsample_forward_kernel2PKfPfmmmm.has_recursion, 0
	.set _Z24upsample_forward_kernel2PKfPfmmmm.has_indirect_call, 0
	.section	.AMDGPU.csdata,"",@progbits
; Kernel info:
; codeLenInByte = 348
; TotalNumSgprs: 20
; NumVgprs: 7
; ScratchSize: 0
; MemoryBound: 0
; FloatMode: 240
; IeeeMode: 1
; LDSByteSize: 0 bytes/workgroup (compile time only)
; SGPRBlocks: 2
; VGPRBlocks: 1
; NumSGPRsForWavesPerEU: 20
; NumVGPRsForWavesPerEU: 7
; Occupancy: 10
; WaveLimiterHint : 0
; COMPUTE_PGM_RSRC2:SCRATCH_EN: 0
; COMPUTE_PGM_RSRC2:USER_SGPR: 6
; COMPUTE_PGM_RSRC2:TRAP_HANDLER: 0
; COMPUTE_PGM_RSRC2:TGID_X_EN: 1
; COMPUTE_PGM_RSRC2:TGID_Y_EN: 1
; COMPUTE_PGM_RSRC2:TGID_Z_EN: 1
; COMPUTE_PGM_RSRC2:TIDIG_COMP_CNT: 1
	.text
	.protected	_Z24upsample_backward_kernelPKfPfmmmm ; -- Begin function _Z24upsample_backward_kernelPKfPfmmmm
	.globl	_Z24upsample_backward_kernelPKfPfmmmm
	.p2align	8
	.type	_Z24upsample_backward_kernelPKfPfmmmm,@function
_Z24upsample_backward_kernelPKfPfmmmm:  ; @_Z24upsample_backward_kernelPKfPfmmmm
; %bb.0:
	s_load_dword s0, s[4:5], 0x3c
	s_load_dwordx8 s[8:15], s[4:5], 0x10
	v_mov_b32_e32 v2, 0
	v_mov_b32_e32 v1, v2
	;; [unrolled: 1-line block ×3, first 2 shown]
	s_waitcnt lgkmcnt(0)
	s_and_b32 s0, s0, 0xffff
	v_mad_u64_u32 v[0:1], s[0:1], s0, v3, v[0:1]
	s_mul_i32 s0, s14, s13
	s_mul_hi_u32 s1, s14, s12
	s_add_i32 s17, s1, s0
	s_mul_i32 s0, s15, s12
	s_mul_i32 s16, s14, s12
	s_add_i32 s17, s17, s0
	s_mul_i32 s0, s16, s11
	s_mul_hi_u32 s1, s16, s10
	s_add_i32 s7, s1, s0
	s_mul_i32 s0, s17, s10
	s_mul_i32 s6, s16, s10
	s_add_i32 s7, s7, s0
	s_mul_i32 s1, s6, s9
	s_mul_hi_u32 s2, s6, s8
	s_mul_i32 s0, s7, s8
	s_add_i32 s1, s2, s1
	s_add_i32 s1, s1, s0
	s_mul_i32 s0, s6, s8
	v_cmp_gt_u64_e32 vcc, s[0:1], v[0:1]
	s_and_saveexec_b64 s[0:1], vcc
	s_cbranch_execz .LBB2_22
; %bb.1:
	v_or_b32_e32 v3, s7, v1
	v_cmp_ne_u64_e32 vcc, 0, v[2:3]
                                        ; implicit-def: $vgpr2_vgpr3
	s_and_saveexec_b64 s[0:1], vcc
	s_xor_b64 s[2:3], exec, s[0:1]
	s_cbranch_execz .LBB2_3
; %bb.2:
	v_cvt_f32_u32_e32 v2, s6
	v_cvt_f32_u32_e32 v3, s7
	s_sub_u32 s8, 0, s6
	s_subb_u32 s9, 0, s7
	v_madmk_f32 v2, v3, 0x4f800000, v2
	v_rcp_f32_e32 v2, v2
	v_mul_f32_e32 v2, 0x5f7ffffc, v2
	v_mul_f32_e32 v3, 0x2f800000, v2
	v_trunc_f32_e32 v3, v3
	v_madmk_f32 v2, v3, 0xcf800000, v2
	v_cvt_u32_f32_e32 v3, v3
	v_cvt_u32_f32_e32 v2, v2
	v_readfirstlane_b32 s18, v3
	v_readfirstlane_b32 s0, v2
	s_mul_i32 s1, s8, s18
	s_mul_hi_u32 s20, s8, s0
	s_mul_i32 s19, s9, s0
	s_add_i32 s1, s20, s1
	s_mul_i32 s21, s8, s0
	s_add_i32 s1, s1, s19
	s_mul_i32 s20, s0, s1
	s_mul_hi_u32 s22, s0, s21
	s_mul_hi_u32 s19, s0, s1
	s_add_u32 s20, s22, s20
	s_addc_u32 s19, 0, s19
	s_mul_hi_u32 s23, s18, s21
	s_mul_i32 s21, s18, s21
	s_add_u32 s20, s20, s21
	s_mul_hi_u32 s22, s18, s1
	s_addc_u32 s19, s19, s23
	s_addc_u32 s20, s22, 0
	s_mul_i32 s1, s18, s1
	s_add_u32 s1, s19, s1
	s_addc_u32 s19, 0, s20
	s_add_u32 s20, s0, s1
	s_cselect_b64 s[0:1], -1, 0
	s_cmp_lg_u64 s[0:1], 0
	s_addc_u32 s18, s18, s19
	s_mul_i32 s0, s8, s18
	s_mul_hi_u32 s1, s8, s20
	s_add_i32 s0, s1, s0
	s_mul_i32 s9, s9, s20
	s_add_i32 s0, s0, s9
	s_mul_i32 s8, s8, s20
	s_mul_hi_u32 s9, s18, s8
	s_mul_i32 s19, s18, s8
	s_mul_i32 s22, s20, s0
	s_mul_hi_u32 s8, s20, s8
	s_mul_hi_u32 s21, s20, s0
	s_add_u32 s8, s8, s22
	s_addc_u32 s21, 0, s21
	s_add_u32 s8, s8, s19
	s_mul_hi_u32 s1, s18, s0
	s_addc_u32 s8, s21, s9
	s_addc_u32 s1, s1, 0
	s_mul_i32 s0, s18, s0
	s_add_u32 s0, s8, s0
	s_addc_u32 s8, 0, s1
	s_add_u32 s9, s20, s0
	s_cselect_b64 s[0:1], -1, 0
	s_cmp_lg_u64 s[0:1], 0
	s_addc_u32 s8, s18, s8
	v_mad_u64_u32 v[2:3], s[0:1], v0, s8, 0
	v_mul_hi_u32 v4, v0, s9
	v_add_co_u32_e32 v6, vcc, v4, v2
	v_addc_co_u32_e32 v7, vcc, 0, v3, vcc
	v_mad_u64_u32 v[2:3], s[0:1], v1, s9, 0
	v_mad_u64_u32 v[4:5], s[0:1], v1, s8, 0
	v_add_co_u32_e32 v2, vcc, v6, v2
	v_addc_co_u32_e32 v2, vcc, v7, v3, vcc
	v_addc_co_u32_e32 v3, vcc, 0, v5, vcc
	v_add_co_u32_e32 v4, vcc, v2, v4
	v_addc_co_u32_e32 v5, vcc, 0, v3, vcc
	v_mul_lo_u32 v6, s7, v4
	v_mul_lo_u32 v7, s6, v5
	v_mad_u64_u32 v[2:3], s[0:1], s6, v4, 0
	v_add3_u32 v3, v3, v7, v6
	v_sub_u32_e32 v6, v1, v3
	v_mov_b32_e32 v7, s7
	v_sub_co_u32_e32 v2, vcc, v0, v2
	v_subb_co_u32_e64 v6, s[0:1], v6, v7, vcc
	v_subrev_co_u32_e64 v7, s[0:1], s6, v2
	v_subbrev_co_u32_e64 v6, s[0:1], 0, v6, s[0:1]
	v_cmp_le_u32_e64 s[0:1], s7, v6
	v_cndmask_b32_e64 v8, 0, -1, s[0:1]
	v_cmp_le_u32_e64 s[0:1], s6, v7
	v_cndmask_b32_e64 v7, 0, -1, s[0:1]
	v_cmp_eq_u32_e64 s[0:1], s7, v6
	v_cndmask_b32_e64 v6, v8, v7, s[0:1]
	v_add_co_u32_e64 v7, s[0:1], 2, v4
	v_addc_co_u32_e64 v8, s[0:1], 0, v5, s[0:1]
	v_add_co_u32_e64 v9, s[0:1], 1, v4
	v_addc_co_u32_e64 v10, s[0:1], 0, v5, s[0:1]
	v_subb_co_u32_e32 v3, vcc, v1, v3, vcc
	v_cmp_ne_u32_e64 s[0:1], 0, v6
	v_cmp_le_u32_e32 vcc, s7, v3
	v_cndmask_b32_e64 v6, v10, v8, s[0:1]
	v_cndmask_b32_e64 v8, 0, -1, vcc
	v_cmp_le_u32_e32 vcc, s6, v2
	v_cndmask_b32_e64 v2, 0, -1, vcc
	v_cmp_eq_u32_e32 vcc, s7, v3
	v_cndmask_b32_e32 v2, v8, v2, vcc
	v_cmp_ne_u32_e32 vcc, 0, v2
	v_cndmask_b32_e64 v2, v9, v7, s[0:1]
	v_cndmask_b32_e32 v3, v5, v6, vcc
	v_cndmask_b32_e32 v2, v4, v2, vcc
.LBB2_3:
	s_andn2_saveexec_b64 s[0:1], s[2:3]
	s_cbranch_execz .LBB2_5
; %bb.4:
	v_cvt_f32_u32_e32 v2, s6
	s_sub_i32 s2, 0, s6
	v_rcp_iflag_f32_e32 v2, v2
	v_mul_f32_e32 v2, 0x4f7ffffe, v2
	v_cvt_u32_f32_e32 v2, v2
	v_mul_lo_u32 v3, s2, v2
	v_mul_hi_u32 v3, v2, v3
	v_add_u32_e32 v2, v2, v3
	v_mul_hi_u32 v2, v0, v2
	v_mul_lo_u32 v3, v2, s6
	v_add_u32_e32 v4, 1, v2
	v_sub_u32_e32 v3, v0, v3
	v_subrev_u32_e32 v5, s6, v3
	v_cmp_le_u32_e32 vcc, s6, v3
	v_cndmask_b32_e32 v3, v3, v5, vcc
	v_cndmask_b32_e32 v2, v2, v4, vcc
	v_add_u32_e32 v4, 1, v2
	v_cmp_le_u32_e32 vcc, s6, v3
	v_cndmask_b32_e32 v2, v2, v4, vcc
	v_mov_b32_e32 v3, 0
.LBB2_5:
	s_or_b64 exec, exec, s[0:1]
	v_or_b32_e32 v5, s17, v1
	v_mov_b32_e32 v4, 0
	v_cmp_ne_u64_e32 vcc, 0, v[4:5]
                                        ; implicit-def: $vgpr6_vgpr7
	s_and_saveexec_b64 s[0:1], vcc
	s_xor_b64 s[2:3], exec, s[0:1]
	s_cbranch_execz .LBB2_7
; %bb.6:
	v_cvt_f32_u32_e32 v4, s16
	v_cvt_f32_u32_e32 v5, s17
	s_sub_u32 s6, 0, s16
	s_subb_u32 s7, 0, s17
	v_madmk_f32 v4, v5, 0x4f800000, v4
	v_rcp_f32_e32 v4, v4
	v_mul_f32_e32 v4, 0x5f7ffffc, v4
	v_mul_f32_e32 v5, 0x2f800000, v4
	v_trunc_f32_e32 v5, v5
	v_madmk_f32 v4, v5, 0xcf800000, v4
	v_cvt_u32_f32_e32 v5, v5
	v_cvt_u32_f32_e32 v4, v4
	v_readfirstlane_b32 s8, v5
	v_readfirstlane_b32 s0, v4
	s_mul_i32 s1, s6, s8
	s_mul_hi_u32 s18, s6, s0
	s_mul_i32 s9, s7, s0
	s_add_i32 s1, s18, s1
	s_mul_i32 s19, s6, s0
	s_add_i32 s1, s1, s9
	s_mul_i32 s18, s0, s1
	s_mul_hi_u32 s20, s0, s19
	s_mul_hi_u32 s9, s0, s1
	s_add_u32 s18, s20, s18
	s_addc_u32 s9, 0, s9
	s_mul_hi_u32 s21, s8, s19
	s_mul_i32 s19, s8, s19
	s_add_u32 s18, s18, s19
	s_mul_hi_u32 s20, s8, s1
	s_addc_u32 s9, s9, s21
	s_addc_u32 s18, s20, 0
	s_mul_i32 s1, s8, s1
	s_add_u32 s1, s9, s1
	s_addc_u32 s9, 0, s18
	s_add_u32 s18, s0, s1
	s_cselect_b64 s[0:1], -1, 0
	s_cmp_lg_u64 s[0:1], 0
	s_addc_u32 s8, s8, s9
	s_mul_i32 s0, s6, s8
	s_mul_hi_u32 s1, s6, s18
	s_add_i32 s0, s1, s0
	s_mul_i32 s7, s7, s18
	s_add_i32 s0, s0, s7
	s_mul_i32 s6, s6, s18
	s_mul_hi_u32 s7, s8, s6
	s_mul_i32 s9, s8, s6
	s_mul_i32 s20, s18, s0
	s_mul_hi_u32 s6, s18, s6
	s_mul_hi_u32 s19, s18, s0
	s_add_u32 s6, s6, s20
	s_addc_u32 s19, 0, s19
	s_add_u32 s6, s6, s9
	s_mul_hi_u32 s1, s8, s0
	s_addc_u32 s6, s19, s7
	s_addc_u32 s1, s1, 0
	s_mul_i32 s0, s8, s0
	s_add_u32 s0, s6, s0
	s_addc_u32 s6, 0, s1
	s_add_u32 s7, s18, s0
	s_cselect_b64 s[0:1], -1, 0
	s_cmp_lg_u64 s[0:1], 0
	s_addc_u32 s6, s8, s6
	v_mad_u64_u32 v[4:5], s[0:1], v0, s6, 0
	v_mul_hi_u32 v6, v0, s7
	v_add_co_u32_e32 v8, vcc, v6, v4
	v_addc_co_u32_e32 v9, vcc, 0, v5, vcc
	v_mad_u64_u32 v[4:5], s[0:1], v1, s7, 0
	v_mad_u64_u32 v[6:7], s[0:1], v1, s6, 0
	v_add_co_u32_e32 v4, vcc, v8, v4
	v_addc_co_u32_e32 v4, vcc, v9, v5, vcc
	v_addc_co_u32_e32 v5, vcc, 0, v7, vcc
	v_add_co_u32_e32 v6, vcc, v4, v6
	v_addc_co_u32_e32 v7, vcc, 0, v5, vcc
	v_mul_lo_u32 v8, s17, v6
	v_mul_lo_u32 v9, s16, v7
	v_mad_u64_u32 v[4:5], s[0:1], s16, v6, 0
	v_add3_u32 v5, v5, v9, v8
	v_sub_u32_e32 v8, v1, v5
	v_mov_b32_e32 v9, s17
	v_sub_co_u32_e32 v4, vcc, v0, v4
	v_subb_co_u32_e64 v8, s[0:1], v8, v9, vcc
	v_subrev_co_u32_e64 v9, s[0:1], s16, v4
	v_subbrev_co_u32_e64 v8, s[0:1], 0, v8, s[0:1]
	v_cmp_le_u32_e64 s[0:1], s17, v8
	v_cndmask_b32_e64 v10, 0, -1, s[0:1]
	v_cmp_le_u32_e64 s[0:1], s16, v9
	v_cndmask_b32_e64 v9, 0, -1, s[0:1]
	v_cmp_eq_u32_e64 s[0:1], s17, v8
	v_cndmask_b32_e64 v8, v10, v9, s[0:1]
	v_add_co_u32_e64 v9, s[0:1], 2, v6
	v_addc_co_u32_e64 v10, s[0:1], 0, v7, s[0:1]
	v_add_co_u32_e64 v11, s[0:1], 1, v6
	v_addc_co_u32_e64 v12, s[0:1], 0, v7, s[0:1]
	v_subb_co_u32_e32 v5, vcc, v1, v5, vcc
	v_cmp_ne_u32_e64 s[0:1], 0, v8
	v_cmp_le_u32_e32 vcc, s17, v5
	v_cndmask_b32_e64 v8, v12, v10, s[0:1]
	v_cndmask_b32_e64 v10, 0, -1, vcc
	v_cmp_le_u32_e32 vcc, s16, v4
	v_cndmask_b32_e64 v4, 0, -1, vcc
	v_cmp_eq_u32_e32 vcc, s17, v5
	v_cndmask_b32_e32 v4, v10, v4, vcc
	v_cmp_ne_u32_e32 vcc, 0, v4
	v_cndmask_b32_e64 v4, v11, v9, s[0:1]
	v_cndmask_b32_e32 v7, v7, v8, vcc
	v_cndmask_b32_e32 v6, v6, v4, vcc
.LBB2_7:
	s_andn2_saveexec_b64 s[0:1], s[2:3]
	s_cbranch_execz .LBB2_9
; %bb.8:
	v_cvt_f32_u32_e32 v4, s16
	s_sub_i32 s2, 0, s16
	v_rcp_iflag_f32_e32 v4, v4
	v_mul_f32_e32 v4, 0x4f7ffffe, v4
	v_cvt_u32_f32_e32 v4, v4
	v_mul_lo_u32 v5, s2, v4
	v_mul_hi_u32 v5, v4, v5
	v_add_u32_e32 v4, v4, v5
	v_mul_hi_u32 v4, v0, v4
	v_mul_lo_u32 v5, v4, s16
	v_add_u32_e32 v6, 1, v4
	v_sub_u32_e32 v5, v0, v5
	v_subrev_u32_e32 v7, s16, v5
	v_cmp_le_u32_e32 vcc, s16, v5
	v_cndmask_b32_e32 v5, v5, v7, vcc
	v_cndmask_b32_e32 v4, v4, v6, vcc
	v_add_u32_e32 v6, 1, v4
	v_cmp_le_u32_e32 vcc, s16, v5
	v_cndmask_b32_e32 v6, v4, v6, vcc
	v_mov_b32_e32 v7, 0
.LBB2_9:
	s_or_b64 exec, exec, s[0:1]
	v_or_b32_e32 v5, s11, v7
	v_mov_b32_e32 v4, 0
	v_cmp_ne_u64_e32 vcc, 0, v[4:5]
                                        ; implicit-def: $vgpr4_vgpr5
	s_and_saveexec_b64 s[0:1], vcc
	s_xor_b64 s[6:7], exec, s[0:1]
	s_cbranch_execz .LBB2_11
; %bb.10:
	v_cvt_f32_u32_e32 v4, s10
	v_cvt_f32_u32_e32 v5, s11
	s_sub_u32 s2, 0, s10
	s_subb_u32 s3, 0, s11
	v_madmk_f32 v4, v5, 0x4f800000, v4
	v_rcp_f32_e32 v4, v4
	v_mul_f32_e32 v4, 0x5f7ffffc, v4
	v_mul_f32_e32 v5, 0x2f800000, v4
	v_trunc_f32_e32 v5, v5
	v_madmk_f32 v4, v5, 0xcf800000, v4
	v_cvt_u32_f32_e32 v5, v5
	v_cvt_u32_f32_e32 v4, v4
	v_readfirstlane_b32 s8, v5
	v_readfirstlane_b32 s0, v4
	s_mul_i32 s1, s2, s8
	s_mul_hi_u32 s18, s2, s0
	s_mul_i32 s9, s3, s0
	s_add_i32 s1, s18, s1
	s_mul_i32 s19, s2, s0
	s_add_i32 s1, s1, s9
	s_mul_i32 s18, s0, s1
	s_mul_hi_u32 s20, s0, s19
	s_mul_hi_u32 s9, s0, s1
	s_add_u32 s18, s20, s18
	s_addc_u32 s9, 0, s9
	s_mul_hi_u32 s21, s8, s19
	s_mul_i32 s19, s8, s19
	s_add_u32 s18, s18, s19
	s_mul_hi_u32 s20, s8, s1
	s_addc_u32 s9, s9, s21
	s_addc_u32 s18, s20, 0
	s_mul_i32 s1, s8, s1
	s_add_u32 s1, s9, s1
	s_addc_u32 s9, 0, s18
	s_add_u32 s18, s0, s1
	s_cselect_b64 s[0:1], -1, 0
	s_cmp_lg_u64 s[0:1], 0
	s_addc_u32 s8, s8, s9
	s_mul_i32 s0, s2, s8
	s_mul_hi_u32 s1, s2, s18
	s_add_i32 s0, s1, s0
	s_mul_i32 s3, s3, s18
	s_add_i32 s0, s0, s3
	s_mul_i32 s2, s2, s18
	s_mul_hi_u32 s3, s8, s2
	s_mul_i32 s9, s8, s2
	s_mul_i32 s20, s18, s0
	s_mul_hi_u32 s2, s18, s2
	s_mul_hi_u32 s19, s18, s0
	s_add_u32 s2, s2, s20
	s_addc_u32 s19, 0, s19
	s_add_u32 s2, s2, s9
	s_mul_hi_u32 s1, s8, s0
	s_addc_u32 s2, s19, s3
	s_addc_u32 s1, s1, 0
	s_mul_i32 s0, s8, s0
	s_add_u32 s0, s2, s0
	s_addc_u32 s2, 0, s1
	s_add_u32 s3, s18, s0
	s_cselect_b64 s[0:1], -1, 0
	s_cmp_lg_u64 s[0:1], 0
	s_addc_u32 s2, s8, s2
	v_mad_u64_u32 v[4:5], s[0:1], v6, s2, 0
	v_mul_hi_u32 v8, v6, s3
	v_add_co_u32_e32 v10, vcc, v8, v4
	v_addc_co_u32_e32 v11, vcc, 0, v5, vcc
	v_mad_u64_u32 v[4:5], s[0:1], v7, s3, 0
	v_mad_u64_u32 v[8:9], s[0:1], v7, s2, 0
	v_add_co_u32_e32 v4, vcc, v10, v4
	v_addc_co_u32_e32 v4, vcc, v11, v5, vcc
	v_addc_co_u32_e32 v5, vcc, 0, v9, vcc
	v_add_co_u32_e32 v4, vcc, v4, v8
	v_addc_co_u32_e32 v5, vcc, 0, v5, vcc
	v_mul_lo_u32 v8, s11, v4
	v_mul_lo_u32 v9, s10, v5
	v_mad_u64_u32 v[4:5], s[0:1], s10, v4, 0
	v_add3_u32 v5, v5, v9, v8
	v_sub_u32_e32 v8, v7, v5
	v_mov_b32_e32 v9, s11
	v_sub_co_u32_e32 v4, vcc, v6, v4
	v_subb_co_u32_e64 v6, s[0:1], v8, v9, vcc
	v_subrev_co_u32_e64 v8, s[0:1], s10, v4
	v_subbrev_co_u32_e64 v10, s[2:3], 0, v6, s[0:1]
	v_cmp_le_u32_e64 s[2:3], s11, v10
	v_cndmask_b32_e64 v11, 0, -1, s[2:3]
	v_cmp_le_u32_e64 s[2:3], s10, v8
	v_subb_co_u32_e64 v6, s[0:1], v6, v9, s[0:1]
	v_cndmask_b32_e64 v12, 0, -1, s[2:3]
	v_cmp_eq_u32_e64 s[2:3], s11, v10
	v_subrev_co_u32_e64 v9, s[0:1], s10, v8
	v_subb_co_u32_e32 v5, vcc, v7, v5, vcc
	v_cndmask_b32_e64 v11, v11, v12, s[2:3]
	v_subbrev_co_u32_e64 v6, s[0:1], 0, v6, s[0:1]
	v_cmp_le_u32_e32 vcc, s11, v5
	v_cmp_ne_u32_e64 s[0:1], 0, v11
	v_cndmask_b32_e64 v7, 0, -1, vcc
	v_cmp_le_u32_e32 vcc, s10, v4
	v_cndmask_b32_e64 v6, v10, v6, s[0:1]
	v_cndmask_b32_e64 v10, 0, -1, vcc
	v_cmp_eq_u32_e32 vcc, s11, v5
	v_cndmask_b32_e32 v7, v7, v10, vcc
	v_cmp_ne_u32_e32 vcc, 0, v7
	v_cndmask_b32_e32 v5, v5, v6, vcc
	v_cndmask_b32_e64 v6, v8, v9, s[0:1]
	v_cndmask_b32_e32 v4, v4, v6, vcc
                                        ; implicit-def: $vgpr6_vgpr7
.LBB2_11:
	s_andn2_saveexec_b64 s[0:1], s[6:7]
	s_cbranch_execz .LBB2_13
; %bb.12:
	v_cvt_f32_u32_e32 v4, s10
	s_sub_i32 s2, 0, s10
	v_rcp_iflag_f32_e32 v4, v4
	v_mul_f32_e32 v4, 0x4f7ffffe, v4
	v_cvt_u32_f32_e32 v4, v4
	v_mul_lo_u32 v5, s2, v4
	v_mul_hi_u32 v5, v4, v5
	v_add_u32_e32 v4, v4, v5
	v_mul_hi_u32 v4, v6, v4
	v_mul_lo_u32 v4, v4, s10
	v_sub_u32_e32 v4, v6, v4
	v_subrev_u32_e32 v5, s10, v4
	v_cmp_le_u32_e32 vcc, s10, v4
	v_cndmask_b32_e32 v4, v4, v5, vcc
	v_subrev_u32_e32 v5, s10, v4
	v_cmp_le_u32_e32 vcc, s10, v4
	v_cndmask_b32_e32 v4, v4, v5, vcc
	v_mov_b32_e32 v5, 0
.LBB2_13:
	s_or_b64 exec, exec, s[0:1]
	v_or_b32_e32 v7, s15, v1
	v_mov_b32_e32 v6, 0
	v_cmp_ne_u64_e32 vcc, 0, v[6:7]
                                        ; implicit-def: $vgpr6_vgpr7
	s_and_saveexec_b64 s[0:1], vcc
	s_xor_b64 s[2:3], exec, s[0:1]
	s_cbranch_execz .LBB2_15
; %bb.14:
	v_cvt_f32_u32_e32 v6, s14
	v_cvt_f32_u32_e32 v7, s15
	s_sub_u32 s6, 0, s14
	s_subb_u32 s7, 0, s15
	v_madmk_f32 v6, v7, 0x4f800000, v6
	v_rcp_f32_e32 v6, v6
	v_mul_f32_e32 v6, 0x5f7ffffc, v6
	v_mul_f32_e32 v7, 0x2f800000, v6
	v_trunc_f32_e32 v7, v7
	v_madmk_f32 v6, v7, 0xcf800000, v6
	v_cvt_u32_f32_e32 v7, v7
	v_cvt_u32_f32_e32 v6, v6
	v_readfirstlane_b32 s8, v7
	v_readfirstlane_b32 s0, v6
	s_mul_i32 s1, s6, s8
	s_mul_hi_u32 s18, s6, s0
	s_mul_i32 s9, s7, s0
	s_add_i32 s1, s18, s1
	s_mul_i32 s19, s6, s0
	s_add_i32 s1, s1, s9
	s_mul_i32 s18, s0, s1
	s_mul_hi_u32 s20, s0, s19
	s_mul_hi_u32 s9, s0, s1
	s_add_u32 s18, s20, s18
	s_addc_u32 s9, 0, s9
	s_mul_hi_u32 s21, s8, s19
	s_mul_i32 s19, s8, s19
	s_add_u32 s18, s18, s19
	s_mul_hi_u32 s20, s8, s1
	s_addc_u32 s9, s9, s21
	s_addc_u32 s18, s20, 0
	s_mul_i32 s1, s8, s1
	s_add_u32 s1, s9, s1
	s_addc_u32 s9, 0, s18
	s_add_u32 s18, s0, s1
	s_cselect_b64 s[0:1], -1, 0
	s_cmp_lg_u64 s[0:1], 0
	s_addc_u32 s8, s8, s9
	s_mul_i32 s0, s6, s8
	s_mul_hi_u32 s1, s6, s18
	s_add_i32 s0, s1, s0
	s_mul_i32 s7, s7, s18
	s_add_i32 s0, s0, s7
	s_mul_i32 s6, s6, s18
	s_mul_hi_u32 s7, s8, s6
	s_mul_i32 s9, s8, s6
	s_mul_i32 s20, s18, s0
	s_mul_hi_u32 s6, s18, s6
	s_mul_hi_u32 s19, s18, s0
	s_add_u32 s6, s6, s20
	s_addc_u32 s19, 0, s19
	s_add_u32 s6, s6, s9
	s_mul_hi_u32 s1, s8, s0
	s_addc_u32 s6, s19, s7
	s_addc_u32 s1, s1, 0
	s_mul_i32 s0, s8, s0
	s_add_u32 s0, s6, s0
	s_addc_u32 s6, 0, s1
	s_add_u32 s7, s18, s0
	s_cselect_b64 s[0:1], -1, 0
	s_cmp_lg_u64 s[0:1], 0
	s_addc_u32 s6, s8, s6
	v_mad_u64_u32 v[6:7], s[0:1], v0, s6, 0
	v_mul_hi_u32 v8, v0, s7
	v_add_co_u32_e32 v10, vcc, v8, v6
	v_addc_co_u32_e32 v11, vcc, 0, v7, vcc
	v_mad_u64_u32 v[6:7], s[0:1], v1, s7, 0
	v_mad_u64_u32 v[8:9], s[0:1], v1, s6, 0
	v_add_co_u32_e32 v6, vcc, v10, v6
	v_addc_co_u32_e32 v6, vcc, v11, v7, vcc
	v_addc_co_u32_e32 v7, vcc, 0, v9, vcc
	v_add_co_u32_e32 v8, vcc, v6, v8
	v_addc_co_u32_e32 v9, vcc, 0, v7, vcc
	v_mul_lo_u32 v10, s15, v8
	v_mul_lo_u32 v11, s14, v9
	v_mad_u64_u32 v[6:7], s[0:1], s14, v8, 0
	v_add3_u32 v7, v7, v11, v10
	v_sub_u32_e32 v10, v1, v7
	v_mov_b32_e32 v11, s15
	v_sub_co_u32_e32 v6, vcc, v0, v6
	v_subb_co_u32_e64 v10, s[0:1], v10, v11, vcc
	v_subrev_co_u32_e64 v11, s[0:1], s14, v6
	v_subbrev_co_u32_e64 v10, s[0:1], 0, v10, s[0:1]
	v_cmp_le_u32_e64 s[0:1], s15, v10
	v_cndmask_b32_e64 v12, 0, -1, s[0:1]
	v_cmp_le_u32_e64 s[0:1], s14, v11
	v_cndmask_b32_e64 v11, 0, -1, s[0:1]
	v_cmp_eq_u32_e64 s[0:1], s15, v10
	v_cndmask_b32_e64 v10, v12, v11, s[0:1]
	v_add_co_u32_e64 v11, s[0:1], 2, v8
	v_addc_co_u32_e64 v12, s[0:1], 0, v9, s[0:1]
	v_add_co_u32_e64 v13, s[0:1], 1, v8
	v_addc_co_u32_e64 v14, s[0:1], 0, v9, s[0:1]
	v_subb_co_u32_e32 v7, vcc, v1, v7, vcc
	v_cmp_ne_u32_e64 s[0:1], 0, v10
	v_cmp_le_u32_e32 vcc, s15, v7
	v_cndmask_b32_e64 v10, v14, v12, s[0:1]
	v_cndmask_b32_e64 v12, 0, -1, vcc
	v_cmp_le_u32_e32 vcc, s14, v6
	v_cndmask_b32_e64 v6, 0, -1, vcc
	v_cmp_eq_u32_e32 vcc, s15, v7
	v_cndmask_b32_e32 v6, v12, v6, vcc
	v_cmp_ne_u32_e32 vcc, 0, v6
	v_cndmask_b32_e64 v6, v13, v11, s[0:1]
	v_cndmask_b32_e32 v7, v9, v10, vcc
	v_cndmask_b32_e32 v6, v8, v6, vcc
.LBB2_15:
	s_andn2_saveexec_b64 s[0:1], s[2:3]
	s_cbranch_execz .LBB2_17
; %bb.16:
	v_cvt_f32_u32_e32 v6, s14
	s_sub_i32 s2, 0, s14
	v_rcp_iflag_f32_e32 v6, v6
	v_mul_f32_e32 v6, 0x4f7ffffe, v6
	v_cvt_u32_f32_e32 v6, v6
	v_mul_lo_u32 v7, s2, v6
	v_mul_hi_u32 v7, v6, v7
	v_add_u32_e32 v6, v6, v7
	v_mul_hi_u32 v6, v0, v6
	v_mul_lo_u32 v7, v6, s14
	v_add_u32_e32 v8, 1, v6
	v_sub_u32_e32 v7, v0, v7
	v_subrev_u32_e32 v9, s14, v7
	v_cmp_le_u32_e32 vcc, s14, v7
	v_cndmask_b32_e32 v7, v7, v9, vcc
	v_cndmask_b32_e32 v6, v6, v8, vcc
	v_add_u32_e32 v8, 1, v6
	v_cmp_le_u32_e32 vcc, s14, v7
	v_cndmask_b32_e32 v6, v6, v8, vcc
	v_mov_b32_e32 v7, 0
.LBB2_17:
	s_or_b64 exec, exec, s[0:1]
	s_load_dwordx4 s[4:7], s[4:5], 0x0
	v_or_b32_e32 v9, s13, v7
	v_mov_b32_e32 v8, 0
	v_cmp_ne_u64_e32 vcc, 0, v[8:9]
                                        ; implicit-def: $vgpr8_vgpr9
	s_and_saveexec_b64 s[0:1], vcc
	s_xor_b64 s[8:9], exec, s[0:1]
	s_cbranch_execz .LBB2_19
; %bb.18:
	v_cvt_f32_u32_e32 v8, s12
	v_cvt_f32_u32_e32 v9, s13
	s_sub_u32 s2, 0, s12
	s_subb_u32 s3, 0, s13
	v_madmk_f32 v8, v9, 0x4f800000, v8
	v_rcp_f32_e32 v8, v8
	v_mul_f32_e32 v8, 0x5f7ffffc, v8
	v_mul_f32_e32 v9, 0x2f800000, v8
	v_trunc_f32_e32 v9, v9
	v_madmk_f32 v8, v9, 0xcf800000, v8
	v_cvt_u32_f32_e32 v9, v9
	v_cvt_u32_f32_e32 v8, v8
	v_readfirstlane_b32 s18, v9
	v_readfirstlane_b32 s0, v8
	s_mul_i32 s1, s2, s18
	s_mul_hi_u32 s20, s2, s0
	s_mul_i32 s19, s3, s0
	s_add_i32 s1, s20, s1
	s_mul_i32 s21, s2, s0
	s_add_i32 s1, s1, s19
	s_mul_i32 s20, s0, s1
	s_mul_hi_u32 s22, s0, s21
	s_mul_hi_u32 s19, s0, s1
	s_add_u32 s20, s22, s20
	s_addc_u32 s19, 0, s19
	s_mul_hi_u32 s23, s18, s21
	s_mul_i32 s21, s18, s21
	s_add_u32 s20, s20, s21
	s_mul_hi_u32 s22, s18, s1
	s_addc_u32 s19, s19, s23
	s_addc_u32 s20, s22, 0
	s_mul_i32 s1, s18, s1
	s_add_u32 s1, s19, s1
	s_addc_u32 s19, 0, s20
	s_add_u32 s20, s0, s1
	s_cselect_b64 s[0:1], -1, 0
	s_cmp_lg_u64 s[0:1], 0
	s_addc_u32 s18, s18, s19
	s_mul_i32 s0, s2, s18
	s_mul_hi_u32 s1, s2, s20
	s_add_i32 s0, s1, s0
	s_mul_i32 s3, s3, s20
	s_add_i32 s0, s0, s3
	s_mul_i32 s2, s2, s20
	s_mul_hi_u32 s3, s18, s2
	s_mul_i32 s19, s18, s2
	s_mul_i32 s22, s20, s0
	s_mul_hi_u32 s2, s20, s2
	s_mul_hi_u32 s21, s20, s0
	s_add_u32 s2, s2, s22
	s_addc_u32 s21, 0, s21
	s_add_u32 s2, s2, s19
	s_mul_hi_u32 s1, s18, s0
	s_addc_u32 s2, s21, s3
	s_addc_u32 s1, s1, 0
	s_mul_i32 s0, s18, s0
	s_add_u32 s0, s2, s0
	s_addc_u32 s2, 0, s1
	s_add_u32 s3, s20, s0
	s_cselect_b64 s[0:1], -1, 0
	s_cmp_lg_u64 s[0:1], 0
	s_addc_u32 s2, s18, s2
	v_mad_u64_u32 v[8:9], s[0:1], v6, s2, 0
	v_mul_hi_u32 v10, v6, s3
	v_add_co_u32_e32 v12, vcc, v10, v8
	v_addc_co_u32_e32 v13, vcc, 0, v9, vcc
	v_mad_u64_u32 v[8:9], s[0:1], v7, s3, 0
	v_mad_u64_u32 v[10:11], s[0:1], v7, s2, 0
	v_add_co_u32_e32 v8, vcc, v12, v8
	v_addc_co_u32_e32 v8, vcc, v13, v9, vcc
	v_addc_co_u32_e32 v9, vcc, 0, v11, vcc
	v_add_co_u32_e32 v8, vcc, v8, v10
	v_addc_co_u32_e32 v9, vcc, 0, v9, vcc
	v_mul_lo_u32 v10, s13, v8
	v_mul_lo_u32 v11, s12, v9
	v_mad_u64_u32 v[8:9], s[0:1], s12, v8, 0
	v_add3_u32 v9, v9, v11, v10
	v_sub_u32_e32 v10, v7, v9
	v_mov_b32_e32 v11, s13
	v_sub_co_u32_e32 v8, vcc, v6, v8
	v_subb_co_u32_e64 v10, s[0:1], v10, v11, vcc
	v_subrev_co_u32_e64 v12, s[0:1], s12, v8
	v_subbrev_co_u32_e64 v13, s[2:3], 0, v10, s[0:1]
	v_cmp_le_u32_e64 s[2:3], s13, v13
	v_cndmask_b32_e64 v14, 0, -1, s[2:3]
	v_cmp_le_u32_e64 s[2:3], s12, v12
	v_subb_co_u32_e64 v10, s[0:1], v10, v11, s[0:1]
	v_cndmask_b32_e64 v15, 0, -1, s[2:3]
	v_cmp_eq_u32_e64 s[2:3], s13, v13
	v_subrev_co_u32_e64 v11, s[0:1], s12, v12
	v_cndmask_b32_e64 v14, v14, v15, s[2:3]
	v_subbrev_co_u32_e64 v10, s[0:1], 0, v10, s[0:1]
	v_subb_co_u32_e32 v9, vcc, v7, v9, vcc
	v_cmp_ne_u32_e64 s[0:1], 0, v14
	v_cmp_le_u32_e32 vcc, s13, v9
	v_cndmask_b32_e64 v10, v13, v10, s[0:1]
	v_cndmask_b32_e64 v13, 0, -1, vcc
	v_cmp_le_u32_e32 vcc, s12, v8
	v_cndmask_b32_e64 v14, 0, -1, vcc
	v_cmp_eq_u32_e32 vcc, s13, v9
	v_cndmask_b32_e32 v13, v13, v14, vcc
	v_cmp_ne_u32_e32 vcc, 0, v13
	v_cndmask_b32_e32 v9, v9, v10, vcc
	v_cndmask_b32_e64 v10, v12, v11, s[0:1]
	v_cndmask_b32_e32 v8, v8, v10, vcc
.LBB2_19:
	s_andn2_saveexec_b64 s[0:1], s[8:9]
	s_cbranch_execz .LBB2_21
; %bb.20:
	v_cvt_f32_u32_e32 v8, s12
	s_sub_i32 s2, 0, s12
	v_rcp_iflag_f32_e32 v8, v8
	v_mul_f32_e32 v8, 0x4f7ffffe, v8
	v_cvt_u32_f32_e32 v8, v8
	v_mul_lo_u32 v9, s2, v8
	v_mul_hi_u32 v9, v8, v9
	v_add_u32_e32 v8, v8, v9
	v_mul_hi_u32 v8, v6, v8
	v_mul_lo_u32 v8, v8, s12
	v_sub_u32_e32 v8, v6, v8
	v_subrev_u32_e32 v9, s12, v8
	v_cmp_le_u32_e32 vcc, s12, v8
	v_cndmask_b32_e32 v8, v8, v9, vcc
	v_subrev_u32_e32 v9, s12, v8
	v_cmp_le_u32_e32 vcc, s12, v8
	v_cndmask_b32_e32 v8, v8, v9, vcc
	v_mov_b32_e32 v9, 0
.LBB2_21:
	s_or_b64 exec, exec, s[0:1]
	s_mul_i32 s0, s14, s13
	s_mul_hi_u32 s1, s14, s12
	s_add_i32 s2, s1, s0
	v_mul_lo_u32 v10, v7, s14
	v_mul_lo_u32 v11, v6, s15
	v_mad_u64_u32 v[6:7], s[0:1], v6, s14, 0
	v_mad_u64_u32 v[4:5], s[0:1], v2, s10, v[4:5]
	v_mul_lo_u32 v2, v2, s11
	v_mul_lo_u32 v3, v3, s10
	s_mul_i32 s3, s15, s12
	s_add_i32 s2, s2, s3
	s_mul_i32 s3, s14, s12
	v_add3_u32 v10, v7, v11, v10
	v_add3_u32 v11, v3, v5, v2
	v_mul_lo_u32 v5, v9, s14
	v_mul_lo_u32 v9, v8, s15
	v_mad_u64_u32 v[2:3], s[0:1], v8, s14, 0
	v_mul_lo_u32 v12, s2, v4
	v_mul_lo_u32 v13, s3, v11
	v_mad_u64_u32 v[7:8], s[0:1], s3, v4, 0
	v_sub_co_u32_e32 v0, vcc, v0, v6
	v_add3_u32 v8, v8, v13, v12
	v_add3_u32 v3, v3, v9, v5
	v_lshlrev_b64 v[5:6], 4, v[7:8]
	v_subb_co_u32_e32 v1, vcc, v1, v10, vcc
	s_waitcnt lgkmcnt(0)
	v_mov_b32_e32 v7, s5
	v_add_co_u32_e32 v8, vcc, s4, v5
	v_addc_co_u32_e32 v7, vcc, v7, v6, vcc
	v_lshlrev_b64 v[5:6], 4, v[2:3]
	s_lshl_b64 s[0:1], s[14:15], 3
	v_add_co_u32_e32 v8, vcc, v8, v5
	v_addc_co_u32_e32 v7, vcc, v7, v6, vcc
	v_lshlrev_b64 v[5:6], 3, v[0:1]
	v_mov_b32_e32 v9, s1
	v_add_co_u32_e32 v5, vcc, v8, v5
	v_addc_co_u32_e32 v6, vcc, v7, v6, vcc
	global_load_dwordx2 v[7:8], v[5:6], off
	v_add_co_u32_e32 v5, vcc, s0, v5
	v_addc_co_u32_e32 v6, vcc, v6, v9, vcc
	global_load_dwordx2 v[5:6], v[5:6], off
	v_mul_lo_u32 v12, v4, s17
	v_mad_u64_u32 v[9:10], s[0:1], v4, s16, 0
	v_mul_lo_u32 v4, v11, s16
	v_mov_b32_e32 v11, s7
	v_lshlrev_b64 v[2:3], 2, v[2:3]
	v_lshlrev_b64 v[0:1], 2, v[0:1]
	v_add3_u32 v10, v10, v12, v4
	v_lshlrev_b64 v[9:10], 2, v[9:10]
	v_add_co_u32_e32 v4, vcc, s6, v9
	v_addc_co_u32_e32 v9, vcc, v11, v10, vcc
	v_add_co_u32_e32 v2, vcc, v4, v2
	v_addc_co_u32_e32 v3, vcc, v9, v3, vcc
	;; [unrolled: 2-line block ×3, first 2 shown]
	s_waitcnt vmcnt(1)
	v_add_f32_e32 v4, 0, v7
	v_add_f32_e32 v4, v4, v8
	s_waitcnt vmcnt(0)
	v_add_f32_e32 v4, v4, v5
	v_add_f32_e32 v4, v4, v6
	global_store_dword v[0:1], v4, off
.LBB2_22:
	s_endpgm
	.section	.rodata,"a",@progbits
	.p2align	6, 0x0
	.amdhsa_kernel _Z24upsample_backward_kernelPKfPfmmmm
		.amdhsa_group_segment_fixed_size 0
		.amdhsa_private_segment_fixed_size 0
		.amdhsa_kernarg_size 304
		.amdhsa_user_sgpr_count 6
		.amdhsa_user_sgpr_private_segment_buffer 1
		.amdhsa_user_sgpr_dispatch_ptr 0
		.amdhsa_user_sgpr_queue_ptr 0
		.amdhsa_user_sgpr_kernarg_segment_ptr 1
		.amdhsa_user_sgpr_dispatch_id 0
		.amdhsa_user_sgpr_flat_scratch_init 0
		.amdhsa_user_sgpr_private_segment_size 0
		.amdhsa_uses_dynamic_stack 0
		.amdhsa_system_sgpr_private_segment_wavefront_offset 0
		.amdhsa_system_sgpr_workgroup_id_x 1
		.amdhsa_system_sgpr_workgroup_id_y 0
		.amdhsa_system_sgpr_workgroup_id_z 0
		.amdhsa_system_sgpr_workgroup_info 0
		.amdhsa_system_vgpr_workitem_id 0
		.amdhsa_next_free_vgpr 16
		.amdhsa_next_free_sgpr 24
		.amdhsa_reserve_vcc 1
		.amdhsa_reserve_flat_scratch 0
		.amdhsa_float_round_mode_32 0
		.amdhsa_float_round_mode_16_64 0
		.amdhsa_float_denorm_mode_32 3
		.amdhsa_float_denorm_mode_16_64 3
		.amdhsa_dx10_clamp 1
		.amdhsa_ieee_mode 1
		.amdhsa_fp16_overflow 0
		.amdhsa_exception_fp_ieee_invalid_op 0
		.amdhsa_exception_fp_denorm_src 0
		.amdhsa_exception_fp_ieee_div_zero 0
		.amdhsa_exception_fp_ieee_overflow 0
		.amdhsa_exception_fp_ieee_underflow 0
		.amdhsa_exception_fp_ieee_inexact 0
		.amdhsa_exception_int_div_zero 0
	.end_amdhsa_kernel
	.text
.Lfunc_end2:
	.size	_Z24upsample_backward_kernelPKfPfmmmm, .Lfunc_end2-_Z24upsample_backward_kernelPKfPfmmmm
                                        ; -- End function
	.set _Z24upsample_backward_kernelPKfPfmmmm.num_vgpr, 16
	.set _Z24upsample_backward_kernelPKfPfmmmm.num_agpr, 0
	.set _Z24upsample_backward_kernelPKfPfmmmm.numbered_sgpr, 24
	.set _Z24upsample_backward_kernelPKfPfmmmm.num_named_barrier, 0
	.set _Z24upsample_backward_kernelPKfPfmmmm.private_seg_size, 0
	.set _Z24upsample_backward_kernelPKfPfmmmm.uses_vcc, 1
	.set _Z24upsample_backward_kernelPKfPfmmmm.uses_flat_scratch, 0
	.set _Z24upsample_backward_kernelPKfPfmmmm.has_dyn_sized_stack, 0
	.set _Z24upsample_backward_kernelPKfPfmmmm.has_recursion, 0
	.set _Z24upsample_backward_kernelPKfPfmmmm.has_indirect_call, 0
	.section	.AMDGPU.csdata,"",@progbits
; Kernel info:
; codeLenInByte = 3912
; TotalNumSgprs: 28
; NumVgprs: 16
; ScratchSize: 0
; MemoryBound: 0
; FloatMode: 240
; IeeeMode: 1
; LDSByteSize: 0 bytes/workgroup (compile time only)
; SGPRBlocks: 3
; VGPRBlocks: 3
; NumSGPRsForWavesPerEU: 28
; NumVGPRsForWavesPerEU: 16
; Occupancy: 10
; WaveLimiterHint : 0
; COMPUTE_PGM_RSRC2:SCRATCH_EN: 0
; COMPUTE_PGM_RSRC2:USER_SGPR: 6
; COMPUTE_PGM_RSRC2:TRAP_HANDLER: 0
; COMPUTE_PGM_RSRC2:TGID_X_EN: 1
; COMPUTE_PGM_RSRC2:TGID_Y_EN: 0
; COMPUTE_PGM_RSRC2:TGID_Z_EN: 0
; COMPUTE_PGM_RSRC2:TIDIG_COMP_CNT: 0
	.text
	.protected	_Z25upsample_backward_kernel2PKfPfmmmm ; -- Begin function _Z25upsample_backward_kernel2PKfPfmmmm
	.globl	_Z25upsample_backward_kernel2PKfPfmmmm
	.p2align	8
	.type	_Z25upsample_backward_kernel2PKfPfmmmm,@function
_Z25upsample_backward_kernel2PKfPfmmmm: ; @_Z25upsample_backward_kernel2PKfPfmmmm
; %bb.0:
	s_load_dword s0, s[4:5], 0x3c
	s_load_dwordx2 s[10:11], s[4:5], 0x28
	v_mov_b32_e32 v5, 0
	v_mov_b32_e32 v3, v5
	s_waitcnt lgkmcnt(0)
	s_and_b32 s1, s0, 0xffff
	s_mul_i32 s6, s6, s1
	v_add_u32_e32 v2, s6, v0
	v_cmp_gt_u64_e32 vcc, s[10:11], v[2:3]
	s_and_saveexec_b64 s[2:3], vcc
	s_cbranch_execz .LBB3_5
; %bb.1:
	s_load_dwordx4 s[12:15], s[4:5], 0x18
	s_lshr_b32 s0, s0, 16
	s_mul_i32 s7, s7, s0
	v_add_u32_e32 v4, s7, v1
	s_waitcnt lgkmcnt(0)
	v_cmp_gt_u64_e32 vcc, s[14:15], v[4:5]
	s_and_b64 exec, exec, vcc
	s_cbranch_execz .LBB3_5
; %bb.2:
	s_load_dwordx4 s[0:3], s[4:5], 0x0
	v_mov_b32_e32 v0, s12
	s_mov_b32 s9, 0
	v_mov_b32_e32 v1, s13
	v_cmp_lt_u64_e32 vcc, s[8:9], v[0:1]
	s_mov_b64 s[4:5], 0
	s_cbranch_vccnz .LBB3_4
; %bb.3:
	v_cvt_f32_u32_e32 v0, s12
	s_sub_i32 s4, 0, s12
	v_rcp_iflag_f32_e32 v0, v0
	v_mul_f32_e32 v0, 0x4f7ffffe, v0
	v_cvt_u32_f32_e32 v0, v0
	v_readfirstlane_b32 s5, v0
	s_mul_i32 s4, s4, s5
	s_mul_hi_u32 s4, s5, s4
	s_add_i32 s5, s5, s4
	s_mul_hi_u32 s4, s8, s5
	s_mul_i32 s6, s4, s12
	s_sub_i32 s6, s8, s6
	s_add_i32 s5, s4, 1
	s_sub_i32 s7, s6, s12
	s_cmp_ge_u32 s6, s12
	s_cselect_b32 s4, s5, s4
	s_cselect_b32 s6, s7, s6
	s_add_i32 s5, s4, 1
	s_cmp_ge_u32 s6, s12
	s_cselect_b32 s4, s5, s4
.LBB3_4:
	s_mul_i32 s5, s4, s13
	s_mul_hi_u32 s6, s4, s12
	s_add_i32 s9, s6, s5
	s_mul_i32 s12, s4, s12
	s_sub_u32 s16, s8, s12
	s_subb_u32 s17, 0, s9
	s_lshl_b32 s18, s10, 1
	s_lshr_b64 s[4:5], s[10:11], 31
	s_mul_i32 s5, s14, s4
	s_mul_hi_u32 s6, s14, s18
	s_add_i32 s5, s6, s5
	s_mul_i32 s6, s15, s18
	s_add_i32 s7, s5, s6
	s_mul_i32 s6, s14, s18
	s_lshl_b32 s5, s6, 1
	s_lshr_b64 s[6:7], s[6:7], 31
	s_mul_hi_u32 s13, s12, s5
	s_mul_i32 s7, s12, s6
	s_add_i32 s7, s13, s7
	s_mul_i32 s9, s9, s5
	s_add_i32 s13, s7, s9
	s_mul_i32 s12, s12, s5
	s_lshl_b64 s[12:13], s[12:13], 2
	s_waitcnt lgkmcnt(0)
	s_add_u32 s7, s0, s12
	s_addc_u32 s9, s1, s13
	s_mul_i32 s0, s5, s17
	s_mul_hi_u32 s1, s5, s16
	v_lshlrev_b32_e32 v6, 1, v4
	s_add_i32 s12, s1, s0
	v_mad_u64_u32 v[0:1], s[0:1], s18, v6, 0
	s_mul_i32 s0, s6, s16
	s_add_i32 s1, s12, s0
	s_mul_i32 s0, s5, s16
	v_mad_u64_u32 v[6:7], s[4:5], s4, v6, v[1:2]
	s_lshl_b64 s[0:1], s[0:1], 2
	s_add_u32 s0, s7, s0
	v_mov_b32_e32 v1, v6
	v_lshlrev_b64 v[0:1], 2, v[0:1]
	s_addc_u32 s1, s9, s1
	v_mov_b32_e32 v6, s1
	v_add_co_u32_e32 v7, vcc, s0, v0
	v_addc_co_u32_e32 v6, vcc, v6, v1, vcc
	v_lshlrev_b32_e32 v0, 1, v2
	v_mov_b32_e32 v1, 0
	v_lshlrev_b64 v[0:1], 2, v[0:1]
	s_lshl_b64 s[0:1], s[10:11], 3
	v_add_co_u32_e32 v0, vcc, v7, v0
	v_addc_co_u32_e32 v1, vcc, v6, v1, vcc
	v_mov_b32_e32 v7, s1
	v_add_co_u32_e32 v6, vcc, s0, v0
	v_addc_co_u32_e32 v7, vcc, v1, v7, vcc
	global_load_dwordx2 v[8:9], v[0:1], off
	global_load_dwordx2 v[10:11], v[6:7], off
	v_mov_b32_e32 v0, s14
	v_mad_u64_u32 v[0:1], s[0:1], s8, v0, v[4:5]
	s_mul_i32 s0, s8, s15
	v_mov_b32_e32 v6, s3
	v_add_u32_e32 v4, s0, v1
	v_mul_lo_u32 v5, v0, s11
	v_mad_u64_u32 v[0:1], s[0:1], v0, s10, 0
	v_mul_lo_u32 v4, v4, s10
	v_lshlrev_b64 v[2:3], 2, v[2:3]
	v_add3_u32 v1, v1, v5, v4
	v_lshlrev_b64 v[0:1], 2, v[0:1]
	v_add_co_u32_e32 v0, vcc, s2, v0
	v_addc_co_u32_e32 v1, vcc, v6, v1, vcc
	v_add_co_u32_e32 v0, vcc, v0, v2
	v_addc_co_u32_e32 v1, vcc, v1, v3, vcc
	s_waitcnt vmcnt(1)
	v_add_f32_e32 v4, v8, v9
	s_waitcnt vmcnt(0)
	v_add_f32_e32 v4, v4, v10
	v_add_f32_e32 v4, v4, v11
	global_store_dword v[0:1], v4, off
.LBB3_5:
	s_endpgm
	.section	.rodata,"a",@progbits
	.p2align	6, 0x0
	.amdhsa_kernel _Z25upsample_backward_kernel2PKfPfmmmm
		.amdhsa_group_segment_fixed_size 0
		.amdhsa_private_segment_fixed_size 0
		.amdhsa_kernarg_size 304
		.amdhsa_user_sgpr_count 6
		.amdhsa_user_sgpr_private_segment_buffer 1
		.amdhsa_user_sgpr_dispatch_ptr 0
		.amdhsa_user_sgpr_queue_ptr 0
		.amdhsa_user_sgpr_kernarg_segment_ptr 1
		.amdhsa_user_sgpr_dispatch_id 0
		.amdhsa_user_sgpr_flat_scratch_init 0
		.amdhsa_user_sgpr_private_segment_size 0
		.amdhsa_uses_dynamic_stack 0
		.amdhsa_system_sgpr_private_segment_wavefront_offset 0
		.amdhsa_system_sgpr_workgroup_id_x 1
		.amdhsa_system_sgpr_workgroup_id_y 1
		.amdhsa_system_sgpr_workgroup_id_z 1
		.amdhsa_system_sgpr_workgroup_info 0
		.amdhsa_system_vgpr_workitem_id 1
		.amdhsa_next_free_vgpr 12
		.amdhsa_next_free_sgpr 19
		.amdhsa_reserve_vcc 1
		.amdhsa_reserve_flat_scratch 0
		.amdhsa_float_round_mode_32 0
		.amdhsa_float_round_mode_16_64 0
		.amdhsa_float_denorm_mode_32 3
		.amdhsa_float_denorm_mode_16_64 3
		.amdhsa_dx10_clamp 1
		.amdhsa_ieee_mode 1
		.amdhsa_fp16_overflow 0
		.amdhsa_exception_fp_ieee_invalid_op 0
		.amdhsa_exception_fp_denorm_src 0
		.amdhsa_exception_fp_ieee_div_zero 0
		.amdhsa_exception_fp_ieee_overflow 0
		.amdhsa_exception_fp_ieee_underflow 0
		.amdhsa_exception_fp_ieee_inexact 0
		.amdhsa_exception_int_div_zero 0
	.end_amdhsa_kernel
	.text
.Lfunc_end3:
	.size	_Z25upsample_backward_kernel2PKfPfmmmm, .Lfunc_end3-_Z25upsample_backward_kernel2PKfPfmmmm
                                        ; -- End function
	.set _Z25upsample_backward_kernel2PKfPfmmmm.num_vgpr, 12
	.set _Z25upsample_backward_kernel2PKfPfmmmm.num_agpr, 0
	.set _Z25upsample_backward_kernel2PKfPfmmmm.numbered_sgpr, 19
	.set _Z25upsample_backward_kernel2PKfPfmmmm.num_named_barrier, 0
	.set _Z25upsample_backward_kernel2PKfPfmmmm.private_seg_size, 0
	.set _Z25upsample_backward_kernel2PKfPfmmmm.uses_vcc, 1
	.set _Z25upsample_backward_kernel2PKfPfmmmm.uses_flat_scratch, 0
	.set _Z25upsample_backward_kernel2PKfPfmmmm.has_dyn_sized_stack, 0
	.set _Z25upsample_backward_kernel2PKfPfmmmm.has_recursion, 0
	.set _Z25upsample_backward_kernel2PKfPfmmmm.has_indirect_call, 0
	.section	.AMDGPU.csdata,"",@progbits
; Kernel info:
; codeLenInByte = 568
; TotalNumSgprs: 23
; NumVgprs: 12
; ScratchSize: 0
; MemoryBound: 0
; FloatMode: 240
; IeeeMode: 1
; LDSByteSize: 0 bytes/workgroup (compile time only)
; SGPRBlocks: 2
; VGPRBlocks: 2
; NumSGPRsForWavesPerEU: 23
; NumVGPRsForWavesPerEU: 12
; Occupancy: 10
; WaveLimiterHint : 0
; COMPUTE_PGM_RSRC2:SCRATCH_EN: 0
; COMPUTE_PGM_RSRC2:USER_SGPR: 6
; COMPUTE_PGM_RSRC2:TRAP_HANDLER: 0
; COMPUTE_PGM_RSRC2:TGID_X_EN: 1
; COMPUTE_PGM_RSRC2:TGID_Y_EN: 1
; COMPUTE_PGM_RSRC2:TGID_Z_EN: 1
; COMPUTE_PGM_RSRC2:TIDIG_COMP_CNT: 1
	.section	.AMDGPU.gpr_maximums,"",@progbits
	.set amdgpu.max_num_vgpr, 0
	.set amdgpu.max_num_agpr, 0
	.set amdgpu.max_num_sgpr, 0
	.section	.AMDGPU.csdata,"",@progbits
	.type	__hip_cuid_4ee462f314887186,@object ; @__hip_cuid_4ee462f314887186
	.section	.bss,"aw",@nobits
	.globl	__hip_cuid_4ee462f314887186
__hip_cuid_4ee462f314887186:
	.byte	0                               ; 0x0
	.size	__hip_cuid_4ee462f314887186, 1

	.ident	"AMD clang version 22.0.0git (https://github.com/RadeonOpenCompute/llvm-project roc-7.2.4 26084 f58b06dce1f9c15707c5f808fd002e18c2accf7e)"
	.section	".note.GNU-stack","",@progbits
	.addrsig
	.addrsig_sym __hip_cuid_4ee462f314887186
	.amdgpu_metadata
---
amdhsa.kernels:
  - .args:
      - .actual_access:  read_only
        .address_space:  global
        .offset:         0
        .size:           8
        .value_kind:     global_buffer
      - .actual_access:  write_only
        .address_space:  global
        .offset:         8
        .size:           8
        .value_kind:     global_buffer
      - .offset:         16
        .size:           8
        .value_kind:     by_value
      - .offset:         24
        .size:           8
        .value_kind:     by_value
      - .offset:         32
        .size:           8
        .value_kind:     by_value
      - .offset:         40
        .size:           8
        .value_kind:     by_value
      - .offset:         48
        .size:           4
        .value_kind:     hidden_block_count_x
      - .offset:         52
        .size:           4
        .value_kind:     hidden_block_count_y
      - .offset:         56
        .size:           4
        .value_kind:     hidden_block_count_z
      - .offset:         60
        .size:           2
        .value_kind:     hidden_group_size_x
      - .offset:         62
        .size:           2
        .value_kind:     hidden_group_size_y
      - .offset:         64
        .size:           2
        .value_kind:     hidden_group_size_z
      - .offset:         66
        .size:           2
        .value_kind:     hidden_remainder_x
      - .offset:         68
        .size:           2
        .value_kind:     hidden_remainder_y
      - .offset:         70
        .size:           2
        .value_kind:     hidden_remainder_z
      - .offset:         88
        .size:           8
        .value_kind:     hidden_global_offset_x
      - .offset:         96
        .size:           8
        .value_kind:     hidden_global_offset_y
      - .offset:         104
        .size:           8
        .value_kind:     hidden_global_offset_z
      - .offset:         112
        .size:           2
        .value_kind:     hidden_grid_dims
    .group_segment_fixed_size: 0
    .kernarg_segment_align: 8
    .kernarg_segment_size: 304
    .language:       OpenCL C
    .language_version:
      - 2
      - 0
    .max_flat_workgroup_size: 1024
    .name:           _Z23upsample_forward_kernelPKfPfmmmm
    .private_segment_fixed_size: 0
    .sgpr_count:     28
    .sgpr_spill_count: 0
    .symbol:         _Z23upsample_forward_kernelPKfPfmmmm.kd
    .uniform_work_group_size: 1
    .uses_dynamic_stack: false
    .vgpr_count:     16
    .vgpr_spill_count: 0
    .wavefront_size: 64
  - .args:
      - .actual_access:  read_only
        .address_space:  global
        .offset:         0
        .size:           8
        .value_kind:     global_buffer
      - .actual_access:  write_only
        .address_space:  global
        .offset:         8
        .size:           8
        .value_kind:     global_buffer
      - .offset:         16
        .size:           8
        .value_kind:     by_value
      - .offset:         24
        .size:           8
        .value_kind:     by_value
      - .offset:         32
        .size:           8
        .value_kind:     by_value
      - .offset:         40
        .size:           8
        .value_kind:     by_value
      - .offset:         48
        .size:           4
        .value_kind:     hidden_block_count_x
      - .offset:         52
        .size:           4
        .value_kind:     hidden_block_count_y
      - .offset:         56
        .size:           4
        .value_kind:     hidden_block_count_z
      - .offset:         60
        .size:           2
        .value_kind:     hidden_group_size_x
      - .offset:         62
        .size:           2
        .value_kind:     hidden_group_size_y
      - .offset:         64
        .size:           2
        .value_kind:     hidden_group_size_z
      - .offset:         66
        .size:           2
        .value_kind:     hidden_remainder_x
      - .offset:         68
        .size:           2
        .value_kind:     hidden_remainder_y
      - .offset:         70
        .size:           2
        .value_kind:     hidden_remainder_z
      - .offset:         88
        .size:           8
        .value_kind:     hidden_global_offset_x
      - .offset:         96
        .size:           8
        .value_kind:     hidden_global_offset_y
      - .offset:         104
        .size:           8
        .value_kind:     hidden_global_offset_z
      - .offset:         112
        .size:           2
        .value_kind:     hidden_grid_dims
    .group_segment_fixed_size: 0
    .kernarg_segment_align: 8
    .kernarg_segment_size: 304
    .language:       OpenCL C
    .language_version:
      - 2
      - 0
    .max_flat_workgroup_size: 1024
    .name:           _Z24upsample_forward_kernel2PKfPfmmmm
    .private_segment_fixed_size: 0
    .sgpr_count:     20
    .sgpr_spill_count: 0
    .symbol:         _Z24upsample_forward_kernel2PKfPfmmmm.kd
    .uniform_work_group_size: 1
    .uses_dynamic_stack: false
    .vgpr_count:     7
    .vgpr_spill_count: 0
    .wavefront_size: 64
  - .args:
      - .actual_access:  read_only
        .address_space:  global
        .offset:         0
        .size:           8
        .value_kind:     global_buffer
      - .actual_access:  write_only
        .address_space:  global
        .offset:         8
        .size:           8
        .value_kind:     global_buffer
      - .offset:         16
        .size:           8
        .value_kind:     by_value
      - .offset:         24
        .size:           8
        .value_kind:     by_value
      - .offset:         32
        .size:           8
        .value_kind:     by_value
      - .offset:         40
        .size:           8
        .value_kind:     by_value
      - .offset:         48
        .size:           4
        .value_kind:     hidden_block_count_x
      - .offset:         52
        .size:           4
        .value_kind:     hidden_block_count_y
      - .offset:         56
        .size:           4
        .value_kind:     hidden_block_count_z
      - .offset:         60
        .size:           2
        .value_kind:     hidden_group_size_x
      - .offset:         62
        .size:           2
        .value_kind:     hidden_group_size_y
      - .offset:         64
        .size:           2
        .value_kind:     hidden_group_size_z
      - .offset:         66
        .size:           2
        .value_kind:     hidden_remainder_x
      - .offset:         68
        .size:           2
        .value_kind:     hidden_remainder_y
      - .offset:         70
        .size:           2
        .value_kind:     hidden_remainder_z
      - .offset:         88
        .size:           8
        .value_kind:     hidden_global_offset_x
      - .offset:         96
        .size:           8
        .value_kind:     hidden_global_offset_y
      - .offset:         104
        .size:           8
        .value_kind:     hidden_global_offset_z
      - .offset:         112
        .size:           2
        .value_kind:     hidden_grid_dims
    .group_segment_fixed_size: 0
    .kernarg_segment_align: 8
    .kernarg_segment_size: 304
    .language:       OpenCL C
    .language_version:
      - 2
      - 0
    .max_flat_workgroup_size: 1024
    .name:           _Z24upsample_backward_kernelPKfPfmmmm
    .private_segment_fixed_size: 0
    .sgpr_count:     28
    .sgpr_spill_count: 0
    .symbol:         _Z24upsample_backward_kernelPKfPfmmmm.kd
    .uniform_work_group_size: 1
    .uses_dynamic_stack: false
    .vgpr_count:     16
    .vgpr_spill_count: 0
    .wavefront_size: 64
  - .args:
      - .actual_access:  read_only
        .address_space:  global
        .offset:         0
        .size:           8
        .value_kind:     global_buffer
      - .actual_access:  write_only
        .address_space:  global
        .offset:         8
        .size:           8
        .value_kind:     global_buffer
      - .offset:         16
        .size:           8
        .value_kind:     by_value
      - .offset:         24
        .size:           8
        .value_kind:     by_value
      - .offset:         32
        .size:           8
        .value_kind:     by_value
      - .offset:         40
        .size:           8
        .value_kind:     by_value
      - .offset:         48
        .size:           4
        .value_kind:     hidden_block_count_x
      - .offset:         52
        .size:           4
        .value_kind:     hidden_block_count_y
      - .offset:         56
        .size:           4
        .value_kind:     hidden_block_count_z
      - .offset:         60
        .size:           2
        .value_kind:     hidden_group_size_x
      - .offset:         62
        .size:           2
        .value_kind:     hidden_group_size_y
      - .offset:         64
        .size:           2
        .value_kind:     hidden_group_size_z
      - .offset:         66
        .size:           2
        .value_kind:     hidden_remainder_x
      - .offset:         68
        .size:           2
        .value_kind:     hidden_remainder_y
      - .offset:         70
        .size:           2
        .value_kind:     hidden_remainder_z
      - .offset:         88
        .size:           8
        .value_kind:     hidden_global_offset_x
      - .offset:         96
        .size:           8
        .value_kind:     hidden_global_offset_y
      - .offset:         104
        .size:           8
        .value_kind:     hidden_global_offset_z
      - .offset:         112
        .size:           2
        .value_kind:     hidden_grid_dims
    .group_segment_fixed_size: 0
    .kernarg_segment_align: 8
    .kernarg_segment_size: 304
    .language:       OpenCL C
    .language_version:
      - 2
      - 0
    .max_flat_workgroup_size: 1024
    .name:           _Z25upsample_backward_kernel2PKfPfmmmm
    .private_segment_fixed_size: 0
    .sgpr_count:     23
    .sgpr_spill_count: 0
    .symbol:         _Z25upsample_backward_kernel2PKfPfmmmm.kd
    .uniform_work_group_size: 1
    .uses_dynamic_stack: false
    .vgpr_count:     12
    .vgpr_spill_count: 0
    .wavefront_size: 64
amdhsa.target:   amdgcn-amd-amdhsa--gfx906
amdhsa.version:
  - 1
  - 2
...

	.end_amdgpu_metadata
